;; amdgpu-corpus repo=ROCm/rocFFT kind=compiled arch=gfx1201 opt=O3
	.text
	.amdgcn_target "amdgcn-amd-amdhsa--gfx1201"
	.amdhsa_code_object_version 6
	.protected	fft_rtc_back_len4000_factors_10_10_10_4_wgs_200_tpt_200_halfLds_sp_op_CI_CI_unitstride_sbrr_dirReg ; -- Begin function fft_rtc_back_len4000_factors_10_10_10_4_wgs_200_tpt_200_halfLds_sp_op_CI_CI_unitstride_sbrr_dirReg
	.globl	fft_rtc_back_len4000_factors_10_10_10_4_wgs_200_tpt_200_halfLds_sp_op_CI_CI_unitstride_sbrr_dirReg
	.p2align	8
	.type	fft_rtc_back_len4000_factors_10_10_10_4_wgs_200_tpt_200_halfLds_sp_op_CI_CI_unitstride_sbrr_dirReg,@function
fft_rtc_back_len4000_factors_10_10_10_4_wgs_200_tpt_200_halfLds_sp_op_CI_CI_unitstride_sbrr_dirReg: ; @fft_rtc_back_len4000_factors_10_10_10_4_wgs_200_tpt_200_halfLds_sp_op_CI_CI_unitstride_sbrr_dirReg
; %bb.0:
	s_clause 0x2
	s_load_b128 s[8:11], s[0:1], 0x0
	s_load_b128 s[4:7], s[0:1], 0x58
	;; [unrolled: 1-line block ×3, first 2 shown]
	v_mul_u32_u24_e32 v1, 0x148, v0
	v_mov_b32_e32 v5, 0
	v_mov_b32_e32 v29, 0
	;; [unrolled: 1-line block ×3, first 2 shown]
	s_delay_alu instid0(VALU_DEP_4) | instskip(NEXT) | instid1(VALU_DEP_1)
	v_lshrrev_b32_e32 v1, 16, v1
	v_dual_mov_b32 v8, v5 :: v_dual_add_nc_u32 v7, ttmp9, v1
	s_wait_kmcnt 0x0
	v_cmp_lt_u64_e64 s2, s[10:11], 2
	s_delay_alu instid0(VALU_DEP_1)
	s_and_b32 vcc_lo, exec_lo, s2
	s_cbranch_vccnz .LBB0_8
; %bb.1:
	s_load_b64 s[2:3], s[0:1], 0x10
	v_mov_b32_e32 v29, 0
	v_mov_b32_e32 v30, 0
	s_delay_alu instid0(VALU_DEP_2)
	v_mov_b32_e32 v1, v29
	s_add_nc_u64 s[16:17], s[14:15], 8
	s_add_nc_u64 s[18:19], s[12:13], 8
	s_mov_b64 s[20:21], 1
	v_mov_b32_e32 v2, v30
	s_wait_kmcnt 0x0
	s_add_nc_u64 s[22:23], s[2:3], 8
	s_mov_b32 s3, 0
.LBB0_2:                                ; =>This Inner Loop Header: Depth=1
	s_load_b64 s[24:25], s[22:23], 0x0
                                        ; implicit-def: $vgpr3_vgpr4
	s_mov_b32 s2, exec_lo
	s_wait_kmcnt 0x0
	v_or_b32_e32 v6, s25, v8
	s_delay_alu instid0(VALU_DEP_1)
	v_cmpx_ne_u64_e32 0, v[5:6]
	s_wait_alu 0xfffe
	s_xor_b32 s26, exec_lo, s2
	s_cbranch_execz .LBB0_4
; %bb.3:                                ;   in Loop: Header=BB0_2 Depth=1
	s_cvt_f32_u32 s2, s24
	s_cvt_f32_u32 s27, s25
	s_sub_nc_u64 s[30:31], 0, s[24:25]
	s_wait_alu 0xfffe
	s_delay_alu instid0(SALU_CYCLE_1) | instskip(SKIP_1) | instid1(SALU_CYCLE_2)
	s_fmamk_f32 s2, s27, 0x4f800000, s2
	s_wait_alu 0xfffe
	v_s_rcp_f32 s2, s2
	s_delay_alu instid0(TRANS32_DEP_1) | instskip(SKIP_1) | instid1(SALU_CYCLE_2)
	s_mul_f32 s2, s2, 0x5f7ffffc
	s_wait_alu 0xfffe
	s_mul_f32 s27, s2, 0x2f800000
	s_wait_alu 0xfffe
	s_delay_alu instid0(SALU_CYCLE_2) | instskip(SKIP_1) | instid1(SALU_CYCLE_2)
	s_trunc_f32 s27, s27
	s_wait_alu 0xfffe
	s_fmamk_f32 s2, s27, 0xcf800000, s2
	s_cvt_u32_f32 s29, s27
	s_wait_alu 0xfffe
	s_delay_alu instid0(SALU_CYCLE_1) | instskip(SKIP_1) | instid1(SALU_CYCLE_2)
	s_cvt_u32_f32 s28, s2
	s_wait_alu 0xfffe
	s_mul_u64 s[34:35], s[30:31], s[28:29]
	s_wait_alu 0xfffe
	s_mul_hi_u32 s37, s28, s35
	s_mul_i32 s36, s28, s35
	s_mul_hi_u32 s2, s28, s34
	s_mul_i32 s33, s29, s34
	s_wait_alu 0xfffe
	s_add_nc_u64 s[36:37], s[2:3], s[36:37]
	s_mul_hi_u32 s27, s29, s34
	s_mul_hi_u32 s38, s29, s35
	s_add_co_u32 s2, s36, s33
	s_wait_alu 0xfffe
	s_add_co_ci_u32 s2, s37, s27
	s_mul_i32 s34, s29, s35
	s_add_co_ci_u32 s35, s38, 0
	s_wait_alu 0xfffe
	s_add_nc_u64 s[34:35], s[2:3], s[34:35]
	s_wait_alu 0xfffe
	v_add_co_u32 v3, s2, s28, s34
	s_delay_alu instid0(VALU_DEP_1) | instskip(SKIP_1) | instid1(VALU_DEP_1)
	s_cmp_lg_u32 s2, 0
	s_add_co_ci_u32 s29, s29, s35
	v_readfirstlane_b32 s28, v3
	s_wait_alu 0xfffe
	s_delay_alu instid0(VALU_DEP_1)
	s_mul_u64 s[30:31], s[30:31], s[28:29]
	s_wait_alu 0xfffe
	s_mul_hi_u32 s35, s28, s31
	s_mul_i32 s34, s28, s31
	s_mul_hi_u32 s2, s28, s30
	s_mul_i32 s33, s29, s30
	s_wait_alu 0xfffe
	s_add_nc_u64 s[34:35], s[2:3], s[34:35]
	s_mul_hi_u32 s27, s29, s30
	s_mul_hi_u32 s28, s29, s31
	s_wait_alu 0xfffe
	s_add_co_u32 s2, s34, s33
	s_add_co_ci_u32 s2, s35, s27
	s_mul_i32 s30, s29, s31
	s_add_co_ci_u32 s31, s28, 0
	s_wait_alu 0xfffe
	s_add_nc_u64 s[30:31], s[2:3], s[30:31]
	s_wait_alu 0xfffe
	v_add_co_u32 v6, s2, v3, s30
	s_delay_alu instid0(VALU_DEP_1) | instskip(SKIP_1) | instid1(VALU_DEP_1)
	s_cmp_lg_u32 s2, 0
	s_add_co_ci_u32 s2, s29, s31
	v_mul_hi_u32 v13, v7, v6
	s_wait_alu 0xfffe
	v_mad_co_u64_u32 v[3:4], null, v7, s2, 0
	v_mad_co_u64_u32 v[9:10], null, v8, v6, 0
	;; [unrolled: 1-line block ×3, first 2 shown]
	s_delay_alu instid0(VALU_DEP_3) | instskip(SKIP_1) | instid1(VALU_DEP_4)
	v_add_co_u32 v3, vcc_lo, v13, v3
	s_wait_alu 0xfffd
	v_add_co_ci_u32_e32 v4, vcc_lo, 0, v4, vcc_lo
	s_delay_alu instid0(VALU_DEP_2) | instskip(SKIP_1) | instid1(VALU_DEP_2)
	v_add_co_u32 v3, vcc_lo, v3, v9
	s_wait_alu 0xfffd
	v_add_co_ci_u32_e32 v3, vcc_lo, v4, v10, vcc_lo
	s_wait_alu 0xfffd
	v_add_co_ci_u32_e32 v4, vcc_lo, 0, v12, vcc_lo
	s_delay_alu instid0(VALU_DEP_2) | instskip(SKIP_1) | instid1(VALU_DEP_2)
	v_add_co_u32 v6, vcc_lo, v3, v11
	s_wait_alu 0xfffd
	v_add_co_ci_u32_e32 v9, vcc_lo, 0, v4, vcc_lo
	s_delay_alu instid0(VALU_DEP_2) | instskip(SKIP_1) | instid1(VALU_DEP_3)
	v_mul_lo_u32 v10, s25, v6
	v_mad_co_u64_u32 v[3:4], null, s24, v6, 0
	v_mul_lo_u32 v11, s24, v9
	s_delay_alu instid0(VALU_DEP_2) | instskip(NEXT) | instid1(VALU_DEP_2)
	v_sub_co_u32 v3, vcc_lo, v7, v3
	v_add3_u32 v4, v4, v11, v10
	s_delay_alu instid0(VALU_DEP_1) | instskip(SKIP_1) | instid1(VALU_DEP_1)
	v_sub_nc_u32_e32 v10, v8, v4
	s_wait_alu 0xfffd
	v_subrev_co_ci_u32_e64 v10, s2, s25, v10, vcc_lo
	v_add_co_u32 v11, s2, v6, 2
	s_wait_alu 0xf1ff
	v_add_co_ci_u32_e64 v12, s2, 0, v9, s2
	v_sub_co_u32 v13, s2, v3, s24
	v_sub_co_ci_u32_e32 v4, vcc_lo, v8, v4, vcc_lo
	s_wait_alu 0xf1ff
	v_subrev_co_ci_u32_e64 v10, s2, 0, v10, s2
	s_delay_alu instid0(VALU_DEP_3) | instskip(NEXT) | instid1(VALU_DEP_3)
	v_cmp_le_u32_e32 vcc_lo, s24, v13
	v_cmp_eq_u32_e64 s2, s25, v4
	s_wait_alu 0xfffd
	v_cndmask_b32_e64 v13, 0, -1, vcc_lo
	v_cmp_le_u32_e32 vcc_lo, s25, v10
	s_wait_alu 0xfffd
	v_cndmask_b32_e64 v14, 0, -1, vcc_lo
	v_cmp_le_u32_e32 vcc_lo, s24, v3
	;; [unrolled: 3-line block ×3, first 2 shown]
	s_wait_alu 0xfffd
	v_cndmask_b32_e64 v15, 0, -1, vcc_lo
	v_cmp_eq_u32_e32 vcc_lo, s25, v10
	s_wait_alu 0xf1ff
	s_delay_alu instid0(VALU_DEP_2)
	v_cndmask_b32_e64 v3, v15, v3, s2
	s_wait_alu 0xfffd
	v_cndmask_b32_e32 v10, v14, v13, vcc_lo
	v_add_co_u32 v13, vcc_lo, v6, 1
	s_wait_alu 0xfffd
	v_add_co_ci_u32_e32 v14, vcc_lo, 0, v9, vcc_lo
	s_delay_alu instid0(VALU_DEP_3) | instskip(SKIP_1) | instid1(VALU_DEP_2)
	v_cmp_ne_u32_e32 vcc_lo, 0, v10
	s_wait_alu 0xfffd
	v_cndmask_b32_e32 v4, v14, v12, vcc_lo
	v_cndmask_b32_e32 v10, v13, v11, vcc_lo
	v_cmp_ne_u32_e32 vcc_lo, 0, v3
	s_wait_alu 0xfffd
	s_delay_alu instid0(VALU_DEP_2)
	v_dual_cndmask_b32 v4, v9, v4 :: v_dual_cndmask_b32 v3, v6, v10
.LBB0_4:                                ;   in Loop: Header=BB0_2 Depth=1
	s_wait_alu 0xfffe
	s_and_not1_saveexec_b32 s2, s26
	s_cbranch_execz .LBB0_6
; %bb.5:                                ;   in Loop: Header=BB0_2 Depth=1
	v_cvt_f32_u32_e32 v3, s24
	s_sub_co_i32 s26, 0, s24
	s_delay_alu instid0(VALU_DEP_1) | instskip(NEXT) | instid1(TRANS32_DEP_1)
	v_rcp_iflag_f32_e32 v3, v3
	v_mul_f32_e32 v3, 0x4f7ffffe, v3
	s_delay_alu instid0(VALU_DEP_1) | instskip(SKIP_1) | instid1(VALU_DEP_1)
	v_cvt_u32_f32_e32 v3, v3
	s_wait_alu 0xfffe
	v_mul_lo_u32 v4, s26, v3
	s_delay_alu instid0(VALU_DEP_1) | instskip(NEXT) | instid1(VALU_DEP_1)
	v_mul_hi_u32 v4, v3, v4
	v_add_nc_u32_e32 v3, v3, v4
	s_delay_alu instid0(VALU_DEP_1) | instskip(NEXT) | instid1(VALU_DEP_1)
	v_mul_hi_u32 v3, v7, v3
	v_mul_lo_u32 v4, v3, s24
	v_add_nc_u32_e32 v6, 1, v3
	s_delay_alu instid0(VALU_DEP_2) | instskip(NEXT) | instid1(VALU_DEP_1)
	v_sub_nc_u32_e32 v4, v7, v4
	v_subrev_nc_u32_e32 v9, s24, v4
	v_cmp_le_u32_e32 vcc_lo, s24, v4
	s_wait_alu 0xfffd
	s_delay_alu instid0(VALU_DEP_2) | instskip(NEXT) | instid1(VALU_DEP_1)
	v_dual_cndmask_b32 v4, v4, v9 :: v_dual_cndmask_b32 v3, v3, v6
	v_cmp_le_u32_e32 vcc_lo, s24, v4
	v_mov_b32_e32 v4, v5
	s_delay_alu instid0(VALU_DEP_3) | instskip(SKIP_1) | instid1(VALU_DEP_1)
	v_add_nc_u32_e32 v6, 1, v3
	s_wait_alu 0xfffd
	v_cndmask_b32_e32 v3, v3, v6, vcc_lo
.LBB0_6:                                ;   in Loop: Header=BB0_2 Depth=1
	s_wait_alu 0xfffe
	s_or_b32 exec_lo, exec_lo, s2
	v_mul_lo_u32 v6, v4, s24
	s_delay_alu instid0(VALU_DEP_2)
	v_mul_lo_u32 v11, v3, s25
	s_load_b64 s[26:27], s[18:19], 0x0
	v_mad_co_u64_u32 v[9:10], null, v3, s24, 0
	s_load_b64 s[24:25], s[16:17], 0x0
	s_add_nc_u64 s[20:21], s[20:21], 1
	s_add_nc_u64 s[16:17], s[16:17], 8
	s_wait_alu 0xfffe
	v_cmp_ge_u64_e64 s2, s[20:21], s[10:11]
	s_add_nc_u64 s[18:19], s[18:19], 8
	s_add_nc_u64 s[22:23], s[22:23], 8
	v_add3_u32 v6, v10, v11, v6
	v_sub_co_u32 v7, vcc_lo, v7, v9
	s_wait_alu 0xfffd
	s_delay_alu instid0(VALU_DEP_2) | instskip(SKIP_2) | instid1(VALU_DEP_1)
	v_sub_co_ci_u32_e32 v6, vcc_lo, v8, v6, vcc_lo
	s_and_b32 vcc_lo, exec_lo, s2
	s_wait_kmcnt 0x0
	v_mul_lo_u32 v8, s26, v6
	v_mul_lo_u32 v9, s27, v7
	v_mad_co_u64_u32 v[29:30], null, s26, v7, v[29:30]
	v_mul_lo_u32 v6, s24, v6
	v_mul_lo_u32 v10, s25, v7
	v_mad_co_u64_u32 v[1:2], null, s24, v7, v[1:2]
	s_delay_alu instid0(VALU_DEP_4) | instskip(NEXT) | instid1(VALU_DEP_2)
	v_add3_u32 v30, v9, v30, v8
	v_add3_u32 v2, v10, v2, v6
	s_wait_alu 0xfffe
	s_cbranch_vccnz .LBB0_9
; %bb.7:                                ;   in Loop: Header=BB0_2 Depth=1
	v_dual_mov_b32 v8, v4 :: v_dual_mov_b32 v7, v3
	s_branch .LBB0_2
.LBB0_8:
	v_dual_mov_b32 v1, v29 :: v_dual_mov_b32 v2, v30
	v_dual_mov_b32 v3, v7 :: v_dual_mov_b32 v4, v8
.LBB0_9:
	s_load_b64 s[0:1], s[0:1], 0x28
	v_mul_hi_u32 v5, 0x147ae15, v0
	s_lshl_b64 s[10:11], s[10:11], 3
                                        ; implicit-def: $vgpr46
	s_wait_kmcnt 0x0
	v_cmp_gt_u64_e32 vcc_lo, s[0:1], v[3:4]
	v_cmp_le_u64_e64 s0, s[0:1], v[3:4]
	s_delay_alu instid0(VALU_DEP_1)
	s_and_saveexec_b32 s1, s0
	s_wait_alu 0xfffe
	s_xor_b32 s0, exec_lo, s1
; %bb.10:
	v_mul_u32_u24_e32 v5, 0xc8, v5
                                        ; implicit-def: $vgpr29_vgpr30
	s_delay_alu instid0(VALU_DEP_1)
	v_sub_nc_u32_e32 v46, v0, v5
                                        ; implicit-def: $vgpr5
                                        ; implicit-def: $vgpr0
; %bb.11:
	s_wait_alu 0xfffe
	s_or_saveexec_b32 s1, s0
	s_add_nc_u64 s[2:3], s[14:15], s[10:11]
                                        ; implicit-def: $vgpr22
                                        ; implicit-def: $vgpr28
                                        ; implicit-def: $vgpr39
                                        ; implicit-def: $vgpr41
                                        ; implicit-def: $vgpr31
                                        ; implicit-def: $vgpr43
                                        ; implicit-def: $vgpr45
                                        ; implicit-def: $vgpr33
                                        ; implicit-def: $vgpr6
                                        ; implicit-def: $vgpr18
                                        ; implicit-def: $vgpr14
                                        ; implicit-def: $vgpr20
                                        ; implicit-def: $vgpr24
                                        ; implicit-def: $vgpr12
                                        ; implicit-def: $vgpr26
                                        ; implicit-def: $vgpr10
                                        ; implicit-def: $vgpr16
                                        ; implicit-def: $vgpr8
                                        ; implicit-def: $vgpr35
                                        ; implicit-def: $vgpr37
	s_wait_alu 0xfffe
	s_xor_b32 exec_lo, exec_lo, s1
	s_cbranch_execz .LBB0_13
; %bb.12:
	s_add_nc_u64 s[10:11], s[12:13], s[10:11]
	s_load_b64 s[10:11], s[10:11], 0x0
	s_wait_kmcnt 0x0
	v_mul_lo_u32 v8, s11, v3
	v_mul_lo_u32 v9, s10, v4
	v_mad_co_u64_u32 v[6:7], null, s10, v3, 0
	s_delay_alu instid0(VALU_DEP_1) | instskip(SKIP_1) | instid1(VALU_DEP_2)
	v_add3_u32 v7, v7, v9, v8
	v_mul_u32_u24_e32 v9, 0xc8, v5
	v_lshlrev_b64_e32 v[5:6], 3, v[6:7]
	v_lshlrev_b64_e32 v[7:8], 3, v[29:30]
	s_delay_alu instid0(VALU_DEP_3) | instskip(NEXT) | instid1(VALU_DEP_3)
	v_sub_nc_u32_e32 v46, v0, v9
	v_add_co_u32 v0, s0, s4, v5
	s_wait_alu 0xf1ff
	s_delay_alu instid0(VALU_DEP_4) | instskip(NEXT) | instid1(VALU_DEP_3)
	v_add_co_ci_u32_e64 v5, s0, s5, v6, s0
	v_lshlrev_b32_e32 v6, 3, v46
	s_delay_alu instid0(VALU_DEP_3) | instskip(SKIP_1) | instid1(VALU_DEP_3)
	v_add_co_u32 v0, s0, v0, v7
	s_wait_alu 0xf1ff
	v_add_co_ci_u32_e64 v5, s0, v5, v8, s0
	s_delay_alu instid0(VALU_DEP_2) | instskip(SKIP_1) | instid1(VALU_DEP_2)
	v_add_co_u32 v25, s0, v0, v6
	s_wait_alu 0xf1ff
	v_add_co_ci_u32_e64 v26, s0, 0, v5, s0
	s_clause 0x13
	global_load_b64 v[21:22], v[25:26], off
	global_load_b64 v[38:39], v[25:26], off offset:6400
	global_load_b64 v[40:41], v[25:26], off offset:12800
	;; [unrolled: 1-line block ×19, first 2 shown]
.LBB0_13:
	s_or_b32 exec_lo, exec_lo, s1
	s_wait_loadcnt 0xf
	v_dual_add_f32 v0, v40, v42 :: v_dual_sub_f32 v47, v39, v45
	v_dual_sub_f32 v48, v41, v43 :: v_dual_sub_f32 v49, v38, v40
	v_dual_sub_f32 v50, v44, v42 :: v_dual_add_f32 v51, v38, v44
	s_delay_alu instid0(VALU_DEP_3) | instskip(SKIP_2) | instid1(VALU_DEP_4)
	v_fma_f32 v0, -0.5, v0, v21
	v_add_f32_e32 v29, v21, v38
	v_add_f32_e32 v55, v41, v43
	v_dual_add_f32 v49, v49, v50 :: v_dual_sub_f32 v50, v42, v44
	s_delay_alu instid0(VALU_DEP_3) | instskip(SKIP_2) | instid1(VALU_DEP_3)
	v_dual_fmamk_f32 v52, v47, 0xbf737871, v0 :: v_dual_add_f32 v29, v29, v40
	v_dual_fmac_f32 v0, 0x3f737871, v47 :: v_dual_sub_f32 v53, v40, v38
	v_sub_f32_e32 v38, v38, v44
	v_dual_fmac_f32 v52, 0xbf167918, v48 :: v_dual_add_f32 v29, v29, v42
	s_delay_alu instid0(VALU_DEP_3) | instskip(SKIP_2) | instid1(VALU_DEP_3)
	v_fmac_f32_e32 v0, 0x3f167918, v48
	s_load_b64 s[2:3], s[2:3], 0x0
	v_cmp_gt_u32_e64 s0, 0x64, v46
	v_dual_fmac_f32 v52, 0x3e9e377a, v49 :: v_dual_fmac_f32 v21, -0.5, v51
	v_dual_add_f32 v54, v29, v44 :: v_dual_add_f32 v29, v22, v39
	v_add_f32_e32 v50, v53, v50
	v_sub_f32_e32 v40, v40, v42
	s_delay_alu instid0(VALU_DEP_4) | instskip(SKIP_3) | instid1(VALU_DEP_4)
	v_fmamk_f32 v51, v48, 0x3f737871, v21
	v_dual_fmac_f32 v21, 0xbf737871, v48 :: v_dual_sub_f32 v42, v39, v41
	v_fma_f32 v48, -0.5, v55, v22
	v_add_f32_e32 v29, v29, v41
	v_fmac_f32_e32 v51, 0xbf167918, v47
	v_fmac_f32_e32 v0, 0x3e9e377a, v49
	s_delay_alu instid0(VALU_DEP_4) | instskip(SKIP_2) | instid1(VALU_DEP_3)
	v_fmamk_f32 v44, v38, 0x3f737871, v48
	v_fmac_f32_e32 v21, 0x3f167918, v47
	v_dual_add_f32 v29, v29, v43 :: v_dual_fmac_f32 v48, 0xbf737871, v38
	v_dual_add_f32 v47, v39, v45 :: v_dual_fmac_f32 v44, 0x3f167918, v40
	v_sub_f32_e32 v49, v45, v43
	v_fmac_f32_e32 v51, 0x3e9e377a, v50
	s_delay_alu instid0(VALU_DEP_4) | instskip(NEXT) | instid1(VALU_DEP_4)
	v_fmac_f32_e32 v48, 0xbf167918, v40
	v_dual_fmac_f32 v21, 0x3e9e377a, v50 :: v_dual_fmac_f32 v22, -0.5, v47
	v_add_f32_e32 v47, v29, v45
	s_wait_loadcnt 0xa
	v_dual_add_f32 v29, v42, v49 :: v_dual_add_f32 v42, v27, v36
	s_wait_loadcnt 0x7
	v_dual_sub_f32 v50, v30, v36 :: v_dual_fmamk_f32 v49, v40, 0xbf737871, v22
	v_dual_fmac_f32 v22, 0x3f737871, v40 :: v_dual_sub_f32 v39, v41, v39
	s_delay_alu instid0(VALU_DEP_3) | instskip(SKIP_1) | instid1(VALU_DEP_3)
	v_fmac_f32_e32 v48, 0x3e9e377a, v29
	v_dual_sub_f32 v41, v43, v45 :: v_dual_add_f32 v40, v30, v42
	v_fmac_f32_e32 v22, 0xbf167918, v38
	v_fmac_f32_e32 v44, 0x3e9e377a, v29
	;; [unrolled: 1-line block ×3, first 2 shown]
	s_delay_alu instid0(VALU_DEP_4) | instskip(SKIP_4) | instid1(VALU_DEP_2)
	v_add_f32_e32 v39, v39, v41
	s_wait_loadcnt 0x4
	v_add_f32_e32 v41, v30, v34
	s_wait_loadcnt 0x1
	v_sub_f32_e32 v43, v32, v34
	v_fma_f32 v38, -0.5, v41, v27
	v_sub_f32_e32 v41, v37, v33
	v_add_f32_e32 v29, v34, v40
	v_add_f32_e32 v40, v32, v36
	s_delay_alu instid0(VALU_DEP_1)
	v_dual_fmac_f32 v27, -0.5, v40 :: v_dual_sub_f32 v40, v36, v30
	v_fmac_f32_e32 v49, 0x3e9e377a, v39
	v_fmac_f32_e32 v22, 0x3e9e377a, v39
	v_fmamk_f32 v39, v41, 0xbf737871, v38
	v_fmac_f32_e32 v38, 0x3f737871, v41
	v_add_f32_e32 v40, v43, v40
	v_dual_add_f32 v42, v32, v29 :: v_dual_sub_f32 v29, v31, v35
	v_sub_f32_e32 v30, v30, v34
	s_delay_alu instid0(VALU_DEP_2) | instskip(NEXT) | instid1(VALU_DEP_1)
	v_fmac_f32_e32 v38, 0x3f167918, v29
	v_fmac_f32_e32 v38, 0x3e9e377a, v40
	v_fmamk_f32 v45, v29, 0x3f737871, v27
	v_fmac_f32_e32 v39, 0xbf167918, v29
	v_fmac_f32_e32 v27, 0xbf737871, v29
	v_add_f32_e32 v29, v31, v35
	s_delay_alu instid0(VALU_DEP_3) | instskip(NEXT) | instid1(VALU_DEP_3)
	v_fmac_f32_e32 v39, 0x3e9e377a, v40
	v_fmac_f32_e32 v27, 0x3f167918, v41
	v_add_f32_e32 v40, v33, v37
	v_fmac_f32_e32 v45, 0xbf167918, v41
	v_fma_f32 v41, -0.5, v29, v28
	v_sub_f32_e32 v29, v36, v32
	v_dual_sub_f32 v53, v34, v32 :: v_dual_add_f32 v32, v28, v37
	v_fmac_f32_e32 v28, -0.5, v40
	v_sub_f32_e32 v36, v37, v31
	s_delay_alu instid0(VALU_DEP_4) | instskip(NEXT) | instid1(VALU_DEP_4)
	v_fmamk_f32 v34, v29, 0x3f737871, v41
	v_dual_add_f32 v43, v53, v50 :: v_dual_sub_f32 v50, v35, v33
	v_sub_f32_e32 v40, v33, v35
	s_delay_alu instid0(VALU_DEP_3) | instskip(NEXT) | instid1(VALU_DEP_2)
	v_fmac_f32_e32 v34, 0x3f167918, v30
	v_dual_fmac_f32 v45, 0x3e9e377a, v43 :: v_dual_add_f32 v36, v40, v36
	s_delay_alu instid0(VALU_DEP_1) | instskip(NEXT) | instid1(VALU_DEP_1)
	v_dual_fmac_f32 v27, 0x3e9e377a, v43 :: v_dual_fmac_f32 v34, 0x3e9e377a, v36
	v_dual_sub_f32 v37, v31, v37 :: v_dual_mul_f32 v40, 0xbf167918, v34
	s_delay_alu instid0(VALU_DEP_1) | instskip(SKIP_2) | instid1(VALU_DEP_4)
	v_add_f32_e32 v37, v50, v37
	v_mul_f32_e32 v57, 0x3f4f1bbd, v34
	v_sub_f32_e32 v34, v54, v42
	v_fmac_f32_e32 v40, 0x3f4f1bbd, v39
	v_fmamk_f32 v43, v30, 0xbf737871, v28
	v_fmac_f32_e32 v28, 0x3f737871, v30
	v_fmac_f32_e32 v57, 0x3f167918, v39
	s_delay_alu instid0(VALU_DEP_2) | instskip(NEXT) | instid1(VALU_DEP_1)
	v_fmac_f32_e32 v28, 0xbf167918, v29
	v_fmac_f32_e32 v28, 0x3e9e377a, v37
	;; [unrolled: 1-line block ×3, first 2 shown]
	s_delay_alu instid0(VALU_DEP_2) | instskip(NEXT) | instid1(VALU_DEP_1)
	v_mul_f32_e32 v53, 0xbf737871, v28
	v_dual_mul_f32 v58, 0xbe9e377a, v28 :: v_dual_fmac_f32 v53, 0xbe9e377a, v27
	s_delay_alu instid0(VALU_DEP_3) | instskip(NEXT) | instid1(VALU_DEP_2)
	v_dual_fmac_f32 v41, 0xbf167918, v30 :: v_dual_add_f32 v30, v52, v40
	v_fmac_f32_e32 v58, 0x3f737871, v27
	v_fmac_f32_e32 v43, 0x3f167918, v29
	s_delay_alu instid0(VALU_DEP_4) | instskip(NEXT) | instid1(VALU_DEP_4)
	v_dual_add_f32 v29, v31, v32 :: v_dual_add_f32 v32, v21, v53
	v_fmac_f32_e32 v41, 0x3e9e377a, v36
	v_dual_sub_f32 v27, v52, v40 :: v_dual_add_f32 v40, v19, v23
	v_add_f32_e32 v36, v44, v57
	s_wait_loadcnt 0x0
	v_sub_f32_e32 v52, v25, v23
	v_mul_f32_e32 v56, 0xbf167918, v41
	v_mul_f32_e32 v59, 0xbf4f1bbd, v41
	s_delay_alu instid0(VALU_DEP_2) | instskip(NEXT) | instid1(VALU_DEP_2)
	v_dual_add_f32 v29, v35, v29 :: v_dual_fmac_f32 v56, 0xbf4f1bbd, v38
	v_fmac_f32_e32 v59, 0x3f167918, v38
	v_dual_add_f32 v38, v22, v58 :: v_dual_fmac_f32 v43, 0x3e9e377a, v37
	s_delay_alu instid0(VALU_DEP_1) | instskip(NEXT) | instid1(VALU_DEP_1)
	v_mul_f32_e32 v50, 0xbf737871, v43
	v_fmac_f32_e32 v50, 0x3e9e377a, v45
	v_add_f32_e32 v55, v33, v29
	v_add_f32_e32 v29, v54, v42
	;; [unrolled: 1-line block ×3, first 2 shown]
	v_sub_f32_e32 v42, v0, v56
	v_add_f32_e32 v0, v5, v17
	v_dual_sub_f32 v28, v51, v50 :: v_dual_mul_f32 v45, 0x3f737871, v45
	v_add_f32_e32 v31, v51, v50
	v_fma_f32 v50, -0.5, v40, v5
	v_sub_f32_e32 v40, v47, v55
	v_dual_add_f32 v0, v0, v19 :: v_dual_sub_f32 v41, v21, v53
	v_dual_add_f32 v35, v47, v55 :: v_dual_add_f32 v54, v6, v18
	v_sub_f32_e32 v47, v20, v24
	s_delay_alu instid0(VALU_DEP_3) | instskip(SKIP_2) | instid1(VALU_DEP_3)
	v_add_f32_e32 v0, v0, v23
	v_fmac_f32_e32 v45, 0x3e9e377a, v43
	v_sub_f32_e32 v43, v44, v57
	v_dual_sub_f32 v51, v18, v26 :: v_dual_add_f32 v0, v0, v25
	s_delay_alu instid0(VALU_DEP_3) | instskip(SKIP_2) | instid1(VALU_DEP_1)
	v_add_f32_e32 v37, v49, v45
	v_sub_f32_e32 v44, v49, v45
	v_sub_f32_e32 v49, v17, v19
	v_add_f32_e32 v49, v49, v52
	v_dual_sub_f32 v21, v22, v58 :: v_dual_sub_f32 v22, v48, v59
	v_add_f32_e32 v53, v17, v25
	v_sub_f32_e32 v52, v19, v17
	v_sub_f32_e32 v19, v19, v23
	v_add_f32_e32 v55, v20, v24
	s_delay_alu instid0(VALU_DEP_4) | instskip(SKIP_3) | instid1(VALU_DEP_4)
	v_fmac_f32_e32 v5, -0.5, v53
	v_sub_f32_e32 v53, v23, v25
	v_fmamk_f32 v45, v51, 0xbf737871, v50
	v_fmac_f32_e32 v50, 0x3f737871, v51
	v_dual_add_f32 v39, v48, v59 :: v_dual_fmamk_f32 v48, v47, 0x3f737871, v5
	s_delay_alu instid0(VALU_DEP_3) | instskip(NEXT) | instid1(VALU_DEP_3)
	v_dual_add_f32 v52, v52, v53 :: v_dual_fmac_f32 v45, 0xbf167918, v47
	v_fmac_f32_e32 v50, 0x3f167918, v47
	v_fmac_f32_e32 v5, 0xbf737871, v47
	v_add_f32_e32 v47, v54, v20
	v_fma_f32 v53, -0.5, v55, v6
	v_fmac_f32_e32 v45, 0x3e9e377a, v49
	v_dual_fmac_f32 v50, 0x3e9e377a, v49 :: v_dual_add_f32 v49, v18, v26
	v_dual_sub_f32 v23, v18, v20 :: v_dual_sub_f32 v18, v20, v18
	v_sub_f32_e32 v20, v24, v26
	v_fmac_f32_e32 v48, 0xbf167918, v51
	s_delay_alu instid0(VALU_DEP_4) | instskip(SKIP_1) | instid1(VALU_DEP_4)
	v_dual_fmac_f32 v6, -0.5, v49 :: v_dual_fmac_f32 v5, 0x3f167918, v51
	v_sub_f32_e32 v51, v26, v24
	v_dual_add_f32 v18, v18, v20 :: v_dual_sub_f32 v17, v17, v25
	s_delay_alu instid0(VALU_DEP_3) | instskip(SKIP_4) | instid1(VALU_DEP_4)
	v_fmamk_f32 v49, v19, 0xbf737871, v6
	v_fmac_f32_e32 v6, 0x3f737871, v19
	v_add_f32_e32 v20, v11, v15
	v_dual_add_f32 v25, v47, v24 :: v_dual_add_f32 v24, v13, v7
	v_fmac_f32_e32 v48, 0x3e9e377a, v52
	v_fmac_f32_e32 v6, 0xbf167918, v17
	v_sub_f32_e32 v54, v11, v9
	s_delay_alu instid0(VALU_DEP_2) | instskip(SKIP_3) | instid1(VALU_DEP_3)
	v_fmac_f32_e32 v6, 0x3e9e377a, v18
	v_fmamk_f32 v47, v17, 0x3f737871, v53
	v_fmac_f32_e32 v53, 0xbf737871, v17
	v_fmac_f32_e32 v49, 0x3f167918, v17
	;; [unrolled: 1-line block ×3, first 2 shown]
	s_delay_alu instid0(VALU_DEP_3) | instskip(SKIP_3) | instid1(VALU_DEP_3)
	v_fmac_f32_e32 v53, 0xbf167918, v19
	v_dual_add_f32 v19, v15, v24 :: v_dual_sub_f32 v24, v13, v15
	v_add_f32_e32 v25, v25, v26
	v_dual_sub_f32 v26, v9, v11 :: v_dual_fmac_f32 v49, 0x3e9e377a, v18
	v_add_f32_e32 v17, v11, v19
	v_fma_f32 v19, -0.5, v20, v7
	v_add_f32_e32 v20, v13, v9
	s_delay_alu instid0(VALU_DEP_4) | instskip(NEXT) | instid1(VALU_DEP_4)
	v_dual_add_f32 v24, v26, v24 :: v_dual_add_f32 v23, v23, v51
	v_dual_add_f32 v18, v9, v17 :: v_dual_fmac_f32 v5, 0x3e9e377a, v52
	v_sub_f32_e32 v52, v15, v13
	v_sub_f32_e32 v11, v15, v11
	v_fmac_f32_e32 v7, -0.5, v20
	v_sub_f32_e32 v9, v13, v9
	v_sub_f32_e32 v17, v16, v12
	v_dual_add_f32 v26, v54, v52 :: v_dual_fmac_f32 v47, 0x3e9e377a, v23
	v_dual_sub_f32 v52, v12, v10 :: v_dual_fmac_f32 v53, 0x3e9e377a, v23
	v_sub_f32_e32 v23, v14, v10
	s_delay_alu instid0(VALU_DEP_4) | instskip(SKIP_1) | instid1(VALU_DEP_3)
	v_fmamk_f32 v51, v17, 0x3f737871, v7
	v_fmac_f32_e32 v7, 0xbf737871, v17
	v_fmamk_f32 v20, v23, 0xbf737871, v19
	v_fmac_f32_e32 v19, 0x3f737871, v23
	s_delay_alu instid0(VALU_DEP_4) | instskip(NEXT) | instid1(VALU_DEP_4)
	v_fmac_f32_e32 v51, 0xbf167918, v23
	v_fmac_f32_e32 v7, 0x3f167918, v23
	s_delay_alu instid0(VALU_DEP_4) | instskip(NEXT) | instid1(VALU_DEP_4)
	v_dual_add_f32 v23, v14, v10 :: v_dual_fmac_f32 v20, 0xbf167918, v17
	v_fmac_f32_e32 v19, 0x3f167918, v17
	v_add_f32_e32 v17, v12, v16
	s_delay_alu instid0(VALU_DEP_4) | instskip(SKIP_2) | instid1(VALU_DEP_4)
	v_fmac_f32_e32 v7, 0x3e9e377a, v26
	v_add_f32_e32 v13, v14, v8
	v_fmac_f32_e32 v20, 0x3e9e377a, v24
	v_fma_f32 v17, -0.5, v17, v8
	v_dual_fmac_f32 v8, -0.5, v23 :: v_dual_sub_f32 v23, v14, v16
	v_dual_sub_f32 v14, v16, v14 :: v_dual_fmac_f32 v19, 0x3e9e377a, v24
	s_delay_alu instid0(VALU_DEP_3) | instskip(NEXT) | instid1(VALU_DEP_2)
	v_dual_fmamk_f32 v15, v9, 0x3f737871, v17 :: v_dual_sub_f32 v24, v10, v12
	v_dual_mul_f32 v57, 0x3f167918, v20 :: v_dual_add_f32 v14, v52, v14
	s_delay_alu instid0(VALU_DEP_2) | instskip(NEXT) | instid1(VALU_DEP_3)
	v_fmac_f32_e32 v15, 0x3f167918, v11
	v_add_f32_e32 v23, v24, v23
	s_delay_alu instid0(VALU_DEP_1) | instskip(NEXT) | instid1(VALU_DEP_1)
	v_fmac_f32_e32 v15, 0x3e9e377a, v23
	v_mul_f32_e32 v24, 0xbf167918, v15
	s_delay_alu instid0(VALU_DEP_1) | instskip(SKIP_1) | instid1(VALU_DEP_1)
	v_dual_fmac_f32 v57, 0x3f4f1bbd, v15 :: v_dual_fmac_f32 v24, 0x3f4f1bbd, v20
	v_fmac_f32_e32 v17, 0xbf737871, v9
	v_fmac_f32_e32 v17, 0xbf167918, v11
	s_delay_alu instid0(VALU_DEP_1) | instskip(NEXT) | instid1(VALU_DEP_1)
	v_fmac_f32_e32 v17, 0x3e9e377a, v23
	v_mul_f32_e32 v56, 0xbf167918, v17
	v_fmac_f32_e32 v51, 0x3e9e377a, v26
	v_fmamk_f32 v26, v11, 0xbf737871, v8
	v_fmac_f32_e32 v8, 0x3f737871, v11
	v_mul_f32_e32 v59, 0xbf4f1bbd, v17
	s_delay_alu instid0(VALU_DEP_3) | instskip(NEXT) | instid1(VALU_DEP_3)
	v_fmac_f32_e32 v26, 0x3f167918, v9
	v_fmac_f32_e32 v8, 0xbf167918, v9
	s_delay_alu instid0(VALU_DEP_2) | instskip(NEXT) | instid1(VALU_DEP_2)
	v_fmac_f32_e32 v26, 0x3e9e377a, v14
	v_fmac_f32_e32 v8, 0x3e9e377a, v14
	v_sub_f32_e32 v14, v0, v18
	s_delay_alu instid0(VALU_DEP_3) | instskip(NEXT) | instid1(VALU_DEP_3)
	v_mul_f32_e32 v52, 0xbf737871, v26
	v_mul_f32_e32 v54, 0xbf737871, v8
	;; [unrolled: 1-line block ×3, first 2 shown]
	v_dual_add_f32 v8, v47, v57 :: v_dual_fmac_f32 v59, 0x3f167918, v19
	s_delay_alu instid0(VALU_DEP_4) | instskip(NEXT) | instid1(VALU_DEP_4)
	v_fmac_f32_e32 v52, 0x3e9e377a, v51
	v_fmac_f32_e32 v54, 0xbe9e377a, v7
	v_dual_fmac_f32 v56, 0xbf4f1bbd, v19 :: v_dual_sub_f32 v19, v45, v24
	s_delay_alu instid0(VALU_DEP_3) | instskip(SKIP_3) | instid1(VALU_DEP_3)
	v_dual_sub_f32 v47, v47, v57 :: v_dual_sub_f32 v20, v48, v52
	v_mul_f32_e32 v51, 0x3f737871, v51
	v_add_f32_e32 v11, v48, v52
	v_sub_f32_e32 v23, v5, v54
	v_fmac_f32_e32 v51, 0x3e9e377a, v26
	v_add_f32_e32 v9, v16, v13
	s_delay_alu instid0(VALU_DEP_2) | instskip(NEXT) | instid1(VALU_DEP_2)
	v_dual_add_f32 v13, v50, v56 :: v_dual_sub_f32 v48, v49, v51
	v_dual_add_f32 v9, v12, v9 :: v_dual_add_f32 v12, v5, v54
	s_delay_alu instid0(VALU_DEP_1)
	v_add_f32_e32 v55, v10, v9
	v_add_f32_e32 v9, v0, v18
	v_mul_u32_u24_e32 v0, 10, v46
	v_add_f32_e32 v10, v45, v24
	v_sub_f32_e32 v24, v50, v56
	v_fmac_f32_e32 v58, 0x3f737871, v7
	v_sub_f32_e32 v50, v53, v59
	v_lshl_add_u32 v45, v0, 2, 0
	s_delay_alu instid0(VALU_DEP_3) | instskip(NEXT) | instid1(VALU_DEP_2)
	v_add_f32_e32 v16, v6, v58
	v_mad_i32_i24 v0, 0xffffffdc, v46, v45
	v_add_f32_e32 v15, v49, v51
	v_add_nc_u32_e32 v51, 0x1f40, v45
	v_add_nc_u32_e32 v52, 0x1f50, v45
	ds_store_2addr_b64 v45, v[29:30], v[31:32] offset1:1
	ds_store_2addr_b64 v45, v[33:34], v[27:28] offset0:2 offset1:3
	ds_store_2addr_b64 v51, v[9:10], v[11:12] offset1:1
	ds_store_2addr_b64 v52, v[13:14], v[19:20] offset1:1
	v_and_b32_e32 v10, 0xff, v46
	v_add_nc_u32_e32 v32, 0xc00, v0
	v_add_nc_u32_e32 v29, 0x1900, v0
	v_dual_add_f32 v7, v25, v55 :: v_dual_add_nc_u32 v28, 0x1f00, v0
	s_delay_alu instid0(VALU_DEP_4) | instskip(SKIP_3) | instid1(VALU_DEP_4)
	v_mul_lo_u16 v10, 0xcd, v10
	v_dual_sub_f32 v18, v25, v55 :: v_dual_add_nc_u32 v9, 0x600, v0
	v_add_nc_u32_e32 v25, 0x1200, v0
	v_dual_add_f32 v17, v53, v59 :: v_dual_add_nc_u32 v26, 0x3200, v0
	v_lshrrev_b16 v11, 11, v10
	v_dual_sub_f32 v49, v6, v58 :: v_dual_add_nc_u32 v30, 0x2500, v0
	ds_store_b64 v45, v[41:42] offset:32
	ds_store_b64 v45, v[23:24] offset:8032
	global_wb scope:SCOPE_SE
	s_wait_dscnt 0x0
	v_mul_lo_u16 v10, v11, 10
	s_wait_kmcnt 0x0
	s_barrier_signal -1
	s_barrier_wait -1
	global_inv scope:SCOPE_SE
	ds_load_2addr_b32 v[5:6], v0 offset1:200
	ds_load_2addr_b32 v[23:24], v9 offset0:16 offset1:216
	v_sub_nc_u16 v10, v46, v10
	ds_load_2addr_b32 v[59:60], v32 offset0:32 offset1:232
	ds_load_2addr_b32 v[61:62], v25 offset0:48 offset1:248
	ds_load_2addr_b32 v[63:64], v29 offset1:200
	ds_load_2addr_b32 v[65:66], v28 offset0:16 offset1:216
	v_add_nc_u32_e32 v31, 0x2b00, v0
	v_add_nc_u32_e32 v27, 0x3800, v0
	v_and_b32_e32 v12, 0xff, v10
	ds_load_2addr_b32 v[67:68], v30 offset0:32 offset1:232
	ds_load_2addr_b32 v[69:70], v31 offset0:48 offset1:248
	ds_load_2addr_b32 v[71:72], v26 offset1:200
	ds_load_2addr_b32 v[73:74], v27 offset0:16 offset1:216
	global_wb scope:SCOPE_SE
	s_wait_dscnt 0x0
	v_mul_u32_u24_e32 v10, 9, v12
	s_barrier_signal -1
	s_barrier_wait -1
	global_inv scope:SCOPE_SE
	ds_store_2addr_b64 v45, v[35:36], v[37:38] offset1:1
	ds_store_2addr_b64 v45, v[39:40], v[43:44] offset0:2 offset1:3
	ds_store_2addr_b64 v51, v[7:8], v[15:16] offset1:1
	ds_store_2addr_b64 v52, v[17:18], v[47:48] offset1:1
	ds_store_b64 v45, v[21:22] offset:32
	ds_store_b64 v45, v[49:50] offset:8032
	v_lshlrev_b32_e32 v7, 3, v10
	global_wb scope:SCOPE_SE
	s_wait_dscnt 0x0
	s_barrier_signal -1
	s_barrier_wait -1
	global_inv scope:SCOPE_SE
	s_clause 0x1
	global_load_b128 v[15:18], v7, s[8:9]
	global_load_b128 v[19:22], v7, s[8:9] offset:16
	v_add_nc_u32_e32 v10, 0xc8, v46
	s_clause 0x1
	global_load_b128 v[33:36], v7, s[8:9] offset:32
	global_load_b128 v[37:40], v7, s[8:9] offset:48
	v_lshlrev_b32_e32 v12, 2, v12
	v_and_b32_e32 v8, 0xffff, v10
	s_delay_alu instid0(VALU_DEP_1) | instskip(NEXT) | instid1(VALU_DEP_1)
	v_mul_u32_u24_e32 v8, 0xcccd, v8
	v_lshrrev_b32_e32 v13, 19, v8
	s_delay_alu instid0(VALU_DEP_1) | instskip(NEXT) | instid1(VALU_DEP_1)
	v_mul_lo_u16 v8, v13, 10
	v_sub_nc_u16 v8, v10, v8
	s_delay_alu instid0(VALU_DEP_1) | instskip(SKIP_2) | instid1(VALU_DEP_1)
	v_and_b32_e32 v14, 0xffff, v8
	global_load_b64 v[7:8], v7, s[8:9] offset:64
	v_mul_u32_u24_e32 v41, 9, v14
	v_lshlrev_b32_e32 v45, 3, v41
	s_clause 0x4
	global_load_b128 v[41:44], v45, s[8:9]
	global_load_b128 v[47:50], v45, s[8:9] offset:16
	global_load_b128 v[51:54], v45, s[8:9] offset:32
	global_load_b128 v[55:58], v45, s[8:9] offset:48
	global_load_b64 v[75:76], v45, s[8:9] offset:64
	ds_load_2addr_b32 v[77:78], v9 offset0:16 offset1:216
	ds_load_2addr_b32 v[79:80], v32 offset0:32 offset1:232
	;; [unrolled: 1-line block ×3, first 2 shown]
	ds_load_2addr_b32 v[83:84], v29 offset1:200
	ds_load_2addr_b32 v[85:86], v28 offset0:16 offset1:216
	ds_load_2addr_b32 v[87:88], v30 offset0:32 offset1:232
	;; [unrolled: 1-line block ×3, first 2 shown]
	ds_load_2addr_b32 v[91:92], v26 offset1:200
	s_wait_loadcnt_dscnt 0x906
	v_mul_f32_e32 v93, v79, v18
	v_dual_mul_f32 v18, v59, v18 :: v_dual_mul_f32 v45, v77, v16
	v_mul_f32_e32 v16, v23, v16
	s_delay_alu instid0(VALU_DEP_3) | instskip(NEXT) | instid1(VALU_DEP_3)
	v_fmac_f32_e32 v93, v59, v17
	v_fma_f32 v59, v79, v17, -v18
	s_wait_loadcnt_dscnt 0x804
	v_mul_f32_e32 v79, v83, v22
	v_fmac_f32_e32 v45, v23, v15
	v_fma_f32 v23, v77, v15, -v16
	v_mul_f32_e32 v16, v63, v22
	s_delay_alu instid0(VALU_DEP_4) | instskip(SKIP_3) | instid1(VALU_DEP_2)
	v_fmac_f32_e32 v79, v63, v21
	v_mul_f32_e32 v15, v61, v20
	s_wait_loadcnt_dscnt 0x703
	v_mul_f32_e32 v63, v85, v34
	v_fma_f32 v22, v81, v19, -v15
	s_wait_dscnt 0x2
	v_dual_mul_f32 v15, v65, v34 :: v_dual_mul_f32 v34, v87, v36
	s_delay_alu instid0(VALU_DEP_1) | instskip(SKIP_1) | instid1(VALU_DEP_3)
	v_dual_fmac_f32 v34, v67, v35 :: v_dual_mul_f32 v77, v81, v20
	v_fmac_f32_e32 v63, v65, v33
	v_fma_f32 v33, v85, v33, -v15
	s_wait_loadcnt 0x6
	v_mul_f32_e32 v15, v69, v38
	v_fmac_f32_e32 v77, v61, v19
	v_fma_f32 v61, v83, v21, -v16
	ds_load_2addr_b32 v[20:21], v27 offset0:16 offset1:216
	v_mul_f32_e32 v16, v67, v36
	s_wait_dscnt 0x2
	v_mul_f32_e32 v36, v89, v38
	s_wait_dscnt 0x1
	v_mul_f32_e32 v38, v91, v40
	v_fma_f32 v35, v87, v35, -v16
	v_mul_f32_e32 v16, v71, v40
	v_fmac_f32_e32 v36, v69, v37
	v_fma_f32 v37, v89, v37, -v15
	s_wait_loadcnt 0x4
	v_dual_fmac_f32 v38, v71, v39 :: v_dual_mul_f32 v15, v78, v42
	v_fma_f32 v39, v91, v39, -v16
	v_mul_f32_e32 v17, v60, v44
	s_wait_loadcnt 0x3
	v_mul_f32_e32 v18, v64, v50
	v_fmac_f32_e32 v15, v24, v41
	s_wait_dscnt 0x0
	v_mul_f32_e32 v40, v20, v8
	v_mul_f32_e32 v8, v73, v8
	s_delay_alu instid0(VALU_DEP_2) | instskip(NEXT) | instid1(VALU_DEP_2)
	v_fmac_f32_e32 v40, v73, v7
	v_fma_f32 v65, v20, v7, -v8
	v_mul_f32_e32 v7, v24, v42
	v_mul_f32_e32 v24, v80, v44
	;; [unrolled: 1-line block ×4, first 2 shown]
	s_wait_loadcnt 0x1
	v_mul_f32_e32 v50, v70, v56
	v_fma_f32 v16, v78, v41, -v7
	ds_load_2addr_b32 v[7:8], v0 offset1:200
	v_fma_f32 v41, v80, v43, -v17
	v_dual_mul_f32 v17, v62, v48 :: v_dual_fmac_f32 v24, v60, v43
	v_mul_f32_e32 v43, v86, v52
	v_fmac_f32_e32 v20, v62, v47
	v_fmac_f32_e32 v42, v64, v49
	s_delay_alu instid0(VALU_DEP_4)
	v_fma_f32 v19, v82, v47, -v17
	v_mul_f32_e32 v17, v66, v52
	v_fma_f32 v44, v84, v49, -v18
	v_mul_f32_e32 v47, v88, v54
	v_mul_f32_e32 v48, v68, v54
	;; [unrolled: 1-line block ×3, first 2 shown]
	v_fma_f32 v18, v86, v51, -v17
	v_fma_f32 v17, v90, v55, -v50
	v_sub_f32_e32 v60, v38, v34
	v_add_f32_e32 v50, v79, v34
	v_add_f32_e32 v62, v93, v38
	s_wait_loadcnt 0x0
	v_mul_f32_e32 v64, v74, v76
	v_fmac_f32_e32 v43, v66, v51
	v_fma_f32 v48, v88, v53, -v48
	v_add_f32_e32 v54, v5, v93
	v_fma_f32 v50, -0.5, v50, v5
	v_fma_f32 v5, -0.5, v62, v5
	v_sub_f32_e32 v62, v79, v93
	s_wait_dscnt 0x0
	v_dual_add_f32 v66, v7, v59 :: v_dual_fmac_f32 v47, v68, v53
	v_mul_f32_e32 v53, v21, v76
	v_fma_f32 v21, v21, v75, -v64
	v_sub_f32_e32 v64, v34, v38
	v_mul_f32_e32 v51, v92, v58
	v_fma_f32 v52, v92, v57, -v52
	v_sub_f32_e32 v58, v93, v79
	v_add_f32_e32 v54, v54, v79
	s_delay_alu instid0(VALU_DEP_4) | instskip(NEXT) | instid1(VALU_DEP_3)
	v_dual_add_f32 v62, v62, v64 :: v_dual_fmac_f32 v51, v72, v57
	v_dual_sub_f32 v57, v61, v35 :: v_dual_add_f32 v58, v58, v60
	s_delay_alu instid0(VALU_DEP_3) | instskip(SKIP_2) | instid1(VALU_DEP_4)
	v_add_f32_e32 v54, v54, v34
	v_sub_f32_e32 v34, v79, v34
	v_sub_f32_e32 v68, v36, v40
	v_dual_fmamk_f32 v60, v57, 0x3f737871, v5 :: v_dual_mul_f32 v49, v90, v56
	s_delay_alu instid0(VALU_DEP_4)
	v_add_f32_e32 v54, v54, v38
	v_sub_f32_e32 v38, v93, v38
	v_add_f32_e32 v67, v61, v35
	global_wb scope:SCOPE_SE
	v_fmac_f32_e32 v49, v70, v55
	v_sub_f32_e32 v55, v59, v39
	s_barrier_signal -1
	v_fma_f32 v64, -0.5, v67, v7
	v_sub_f32_e32 v67, v39, v35
	v_fmac_f32_e32 v5, 0xbf737871, v57
	v_fmac_f32_e32 v60, 0xbf167918, v55
	s_barrier_wait -1
	global_inv scope:SCOPE_SE
	v_fmac_f32_e32 v60, 0x3e9e377a, v62
	v_fmamk_f32 v56, v55, 0xbf737871, v50
	v_fmac_f32_e32 v50, 0x3f737871, v55
	s_delay_alu instid0(VALU_DEP_2) | instskip(NEXT) | instid1(VALU_DEP_2)
	v_fmac_f32_e32 v56, 0xbf167918, v57
	v_fmac_f32_e32 v50, 0x3f167918, v57
	v_add_f32_e32 v57, v66, v61
	v_sub_f32_e32 v66, v59, v61
	s_delay_alu instid0(VALU_DEP_4) | instskip(NEXT) | instid1(VALU_DEP_4)
	v_fmac_f32_e32 v56, 0x3e9e377a, v58
	v_dual_fmac_f32 v50, 0x3e9e377a, v58 :: v_dual_fmac_f32 v53, v74, v75
	v_add_f32_e32 v58, v59, v39
	v_sub_f32_e32 v59, v61, v59
	v_sub_f32_e32 v61, v40, v36
	s_delay_alu instid0(VALU_DEP_3) | instskip(SKIP_4) | instid1(VALU_DEP_1)
	v_fma_f32 v7, -0.5, v58, v7
	v_add_f32_e32 v58, v66, v67
	v_fmac_f32_e32 v5, 0x3f167918, v55
	v_add_f32_e32 v55, v57, v35
	v_sub_f32_e32 v35, v35, v39
	v_add_f32_e32 v35, v59, v35
	s_delay_alu instid0(VALU_DEP_4) | instskip(SKIP_3) | instid1(VALU_DEP_3)
	v_fmac_f32_e32 v5, 0x3e9e377a, v62
	v_fmamk_f32 v62, v34, 0xbf737871, v7
	v_fmac_f32_e32 v7, 0x3f737871, v34
	v_add_f32_e32 v55, v55, v39
	v_dual_sub_f32 v59, v77, v63 :: v_dual_fmac_f32 v62, 0x3f167918, v38
	s_delay_alu instid0(VALU_DEP_3) | instskip(NEXT) | instid1(VALU_DEP_2)
	v_fmac_f32_e32 v7, 0xbf167918, v38
	v_dual_add_f32 v59, v59, v61 :: v_dual_fmac_f32 v62, 0x3e9e377a, v35
	s_delay_alu instid0(VALU_DEP_2) | instskip(SKIP_4) | instid1(VALU_DEP_2)
	v_fmac_f32_e32 v7, 0x3e9e377a, v35
	v_sub_f32_e32 v35, v33, v37
	v_add_f32_e32 v39, v45, v77
	v_fmamk_f32 v57, v38, 0x3f737871, v64
	v_fmac_f32_e32 v64, 0xbf737871, v38
	v_fmac_f32_e32 v57, 0x3f167918, v34
	s_delay_alu instid0(VALU_DEP_2) | instskip(SKIP_2) | instid1(VALU_DEP_4)
	v_fmac_f32_e32 v64, 0xbf167918, v34
	v_add_f32_e32 v34, v39, v63
	v_add_f32_e32 v39, v63, v36
	v_fmac_f32_e32 v57, 0x3e9e377a, v58
	s_delay_alu instid0(VALU_DEP_4) | instskip(SKIP_1) | instid1(VALU_DEP_4)
	v_fmac_f32_e32 v64, 0x3e9e377a, v58
	v_sub_f32_e32 v58, v22, v65
	v_fma_f32 v38, -0.5, v39, v45
	v_add_f32_e32 v39, v77, v40
	v_add_f32_e32 v34, v34, v36
	v_sub_f32_e32 v36, v63, v36
	v_sub_f32_e32 v67, v63, v77
	;; [unrolled: 1-line block ×3, first 2 shown]
	v_fmac_f32_e32 v45, -0.5, v39
	v_fmamk_f32 v39, v58, 0xbf737871, v38
	s_delay_alu instid0(VALU_DEP_4) | instskip(SKIP_1) | instid1(VALU_DEP_4)
	v_dual_fmac_f32 v38, 0x3f737871, v58 :: v_dual_add_f32 v61, v67, v68
	v_sub_f32_e32 v68, v37, v65
	v_fmamk_f32 v66, v35, 0x3f737871, v45
	v_fmac_f32_e32 v45, 0xbf737871, v35
	s_delay_alu instid0(VALU_DEP_4) | instskip(SKIP_1) | instid1(VALU_DEP_4)
	v_fmac_f32_e32 v38, 0x3f167918, v35
	v_dual_fmac_f32 v39, 0xbf167918, v35 :: v_dual_add_f32 v34, v34, v40
	v_fmac_f32_e32 v66, 0xbf167918, v58
	s_delay_alu instid0(VALU_DEP_4) | instskip(NEXT) | instid1(VALU_DEP_4)
	v_fmac_f32_e32 v45, 0x3f167918, v58
	v_fmac_f32_e32 v38, 0x3e9e377a, v59
	v_add_f32_e32 v58, v22, v65
	v_sub_f32_e32 v40, v77, v40
	v_fmac_f32_e32 v66, 0x3e9e377a, v61
	v_add_f32_e32 v35, v33, v37
	v_fmac_f32_e32 v45, 0x3e9e377a, v61
	v_sub_f32_e32 v61, v22, v33
	s_delay_alu instid0(VALU_DEP_3) | instskip(NEXT) | instid1(VALU_DEP_2)
	v_fma_f32 v35, -0.5, v35, v23
	v_add_f32_e32 v61, v61, v63
	v_fmac_f32_e32 v39, 0x3e9e377a, v59
	v_add_f32_e32 v59, v23, v22
	v_fmac_f32_e32 v23, -0.5, v58
	v_sub_f32_e32 v22, v33, v22
	v_fmamk_f32 v58, v40, 0x3f737871, v35
	v_fmac_f32_e32 v35, 0xbf737871, v40
	s_delay_alu instid0(VALU_DEP_3) | instskip(SKIP_1) | instid1(VALU_DEP_4)
	v_dual_fmamk_f32 v67, v36, 0xbf737871, v23 :: v_dual_add_f32 v22, v22, v68
	v_fmac_f32_e32 v23, 0x3f737871, v36
	v_fmac_f32_e32 v58, 0x3f167918, v36
	s_delay_alu instid0(VALU_DEP_4) | instskip(NEXT) | instid1(VALU_DEP_4)
	v_fmac_f32_e32 v35, 0xbf167918, v36
	v_fmac_f32_e32 v67, 0x3f167918, v40
	s_delay_alu instid0(VALU_DEP_1) | instskip(NEXT) | instid1(VALU_DEP_1)
	v_fmac_f32_e32 v67, 0x3e9e377a, v22
	v_mul_f32_e32 v36, 0xbf737871, v67
	s_delay_alu instid0(VALU_DEP_1) | instskip(NEXT) | instid1(VALU_DEP_1)
	v_dual_mul_f32 v67, 0x3e9e377a, v67 :: v_dual_fmac_f32 v36, 0x3e9e377a, v66
	v_fmac_f32_e32 v67, 0x3f737871, v66
	v_fmac_f32_e32 v23, 0xbf167918, v40
	s_delay_alu instid0(VALU_DEP_3) | instskip(SKIP_2) | instid1(VALU_DEP_4)
	v_add_f32_e32 v63, v60, v36
	v_dual_sub_f32 v36, v60, v36 :: v_dual_fmac_f32 v35, 0x3e9e377a, v61
	v_fmac_f32_e32 v58, 0x3e9e377a, v61
	v_dual_sub_f32 v76, v62, v67 :: v_dual_fmac_f32 v23, 0x3e9e377a, v22
	v_add_f32_e32 v60, v24, v51
	s_delay_alu instid0(VALU_DEP_4) | instskip(NEXT) | instid1(VALU_DEP_1)
	v_dual_mul_f32 v40, 0xbf167918, v35 :: v_dual_add_f32 v33, v59, v33
	v_dual_mul_f32 v35, 0xbf4f1bbd, v35 :: v_dual_fmac_f32 v40, 0xbf4f1bbd, v38
	s_delay_alu instid0(VALU_DEP_2) | instskip(SKIP_1) | instid1(VALU_DEP_3)
	v_dual_add_f32 v22, v33, v37 :: v_dual_mul_f32 v33, 0xbf167918, v58
	v_mul_f32_e32 v58, 0x3f4f1bbd, v58
	v_dual_fmac_f32 v35, 0x3f167918, v38 :: v_dual_add_f32 v68, v50, v40
	s_delay_alu instid0(VALU_DEP_3) | instskip(NEXT) | instid1(VALU_DEP_3)
	v_dual_add_f32 v22, v22, v65 :: v_dual_fmac_f32 v33, 0x3f4f1bbd, v39
	v_fmac_f32_e32 v58, 0x3f167918, v39
	s_delay_alu instid0(VALU_DEP_2) | instskip(SKIP_1) | instid1(VALU_DEP_3)
	v_dual_add_f32 v38, v55, v22 :: v_dual_add_f32 v61, v56, v33
	v_sub_f32_e32 v33, v56, v33
	v_dual_sub_f32 v75, v57, v58 :: v_dual_sub_f32 v56, v44, v48
	v_add_f32_e32 v39, v57, v58
	v_dual_sub_f32 v57, v24, v42 :: v_dual_sub_f32 v58, v51, v47
	v_mul_f32_e32 v37, 0xbf737871, v23
	v_add_f32_e32 v59, v54, v34
	v_sub_f32_e32 v34, v54, v34
	v_add_f32_e32 v54, v42, v47
	s_delay_alu instid0(VALU_DEP_4) | instskip(NEXT) | instid1(VALU_DEP_1)
	v_dual_sub_f32 v22, v55, v22 :: v_dual_fmac_f32 v37, 0xbe9e377a, v45
	v_add_f32_e32 v65, v5, v37
	v_sub_f32_e32 v5, v5, v37
	v_sub_f32_e32 v37, v50, v40
	v_add_f32_e32 v40, v6, v24
	v_fma_f32 v50, -0.5, v54, v6
	v_fmac_f32_e32 v6, -0.5, v60
	v_sub_f32_e32 v60, v47, v51
	s_delay_alu instid0(VALU_DEP_4) | instskip(NEXT) | instid1(VALU_DEP_1)
	v_dual_mul_f32 v23, 0xbe9e377a, v23 :: v_dual_add_f32 v40, v40, v42
	v_dual_sub_f32 v54, v41, v52 :: v_dual_fmac_f32 v23, 0x3f737871, v45
	s_delay_alu instid0(VALU_DEP_1) | instskip(NEXT) | instid1(VALU_DEP_2)
	v_fmamk_f32 v55, v54, 0xbf737871, v50
	v_dual_fmac_f32 v50, 0x3f737871, v54 :: v_dual_add_f32 v73, v7, v23
	v_sub_f32_e32 v23, v7, v23
	v_dual_add_f32 v7, v40, v47 :: v_dual_add_f32 v40, v57, v58
	v_fmamk_f32 v57, v56, 0x3f737871, v6
	v_fmac_f32_e32 v6, 0xbf737871, v56
	v_sub_f32_e32 v58, v42, v24
	v_sub_f32_e32 v24, v24, v51
	v_fmac_f32_e32 v50, 0x3f167918, v56
	v_fmac_f32_e32 v57, 0xbf167918, v54
	;; [unrolled: 1-line block ×3, first 2 shown]
	v_add_f32_e32 v54, v41, v52
	v_add_f32_e32 v74, v64, v35
	v_sub_f32_e32 v35, v64, v35
	v_dual_add_f32 v64, v44, v48 :: v_dual_add_f32 v45, v62, v67
	v_fmac_f32_e32 v50, 0x3e9e377a, v40
	v_add_f32_e32 v62, v8, v41
	v_add_f32_e32 v58, v58, v60
	s_delay_alu instid0(VALU_DEP_4) | instskip(SKIP_4) | instid1(VALU_DEP_3)
	v_fma_f32 v60, -0.5, v64, v8
	v_sub_f32_e32 v42, v42, v47
	v_dual_fmac_f32 v8, -0.5, v54 :: v_dual_fmac_f32 v55, 0xbf167918, v56
	v_add_f32_e32 v56, v62, v44
	v_fmac_f32_e32 v6, 0x3e9e377a, v58
	v_fmamk_f32 v54, v42, 0xbf737871, v8
	s_delay_alu instid0(VALU_DEP_4) | instskip(NEXT) | instid1(VALU_DEP_4)
	v_fmac_f32_e32 v55, 0x3e9e377a, v40
	v_add_f32_e32 v40, v56, v48
	v_sub_f32_e32 v56, v52, v48
	v_fmac_f32_e32 v8, 0x3f737871, v42
	v_fmac_f32_e32 v54, 0x3f167918, v24
	v_sub_f32_e32 v47, v41, v44
	v_sub_f32_e32 v41, v44, v41
	;; [unrolled: 1-line block ×3, first 2 shown]
	v_add_f32_e32 v48, v15, v20
	v_add_f32_e32 v7, v7, v51
	v_fmamk_f32 v51, v24, 0x3f737871, v60
	v_fmac_f32_e32 v60, 0xbf737871, v24
	v_dual_add_f32 v41, v41, v44 :: v_dual_add_f32 v44, v43, v49
	v_fmac_f32_e32 v8, 0xbf167918, v24
	s_delay_alu instid0(VALU_DEP_4) | instskip(NEXT) | instid1(VALU_DEP_4)
	v_fmac_f32_e32 v51, 0x3f167918, v42
	v_fmac_f32_e32 v60, 0xbf167918, v42
	v_add_f32_e32 v42, v48, v43
	v_sub_f32_e32 v48, v20, v43
	v_dual_fmac_f32 v54, 0x3e9e377a, v41 :: v_dual_add_f32 v47, v47, v56
	v_fmac_f32_e32 v8, 0x3e9e377a, v41
	s_delay_alu instid0(VALU_DEP_4)
	v_add_f32_e32 v24, v42, v49
	v_fma_f32 v42, -0.5, v44, v15
	v_dual_add_f32 v44, v20, v53 :: v_dual_fmac_f32 v57, 0x3e9e377a, v58
	v_fmac_f32_e32 v60, 0x3e9e377a, v47
	v_dual_add_f32 v40, v40, v52 :: v_dual_fmac_f32 v51, 0x3e9e377a, v47
	v_add_f32_e32 v24, v24, v53
	v_sub_f32_e32 v41, v18, v17
	v_dual_fmac_f32 v15, -0.5, v44 :: v_dual_sub_f32 v52, v53, v49
	s_delay_alu instid0(VALU_DEP_1) | instskip(NEXT) | instid1(VALU_DEP_2)
	v_dual_sub_f32 v47, v19, v21 :: v_dual_fmamk_f32 v56, v41, 0x3f737871, v15
	v_add_f32_e32 v48, v48, v52
	s_delay_alu instid0(VALU_DEP_2) | instskip(SKIP_3) | instid1(VALU_DEP_4)
	v_fmamk_f32 v44, v47, 0xbf737871, v42
	v_fmac_f32_e32 v42, 0x3f737871, v47
	v_dual_sub_f32 v58, v43, v20 :: v_dual_fmac_f32 v15, 0xbf737871, v41
	v_sub_f32_e32 v62, v49, v53
	v_fmac_f32_e32 v44, 0xbf167918, v41
	s_delay_alu instid0(VALU_DEP_4) | instskip(SKIP_4) | instid1(VALU_DEP_4)
	v_fmac_f32_e32 v42, 0x3f167918, v41
	v_dual_fmac_f32 v56, 0xbf167918, v47 :: v_dual_add_f32 v41, v18, v17
	v_fmac_f32_e32 v15, 0x3f167918, v47
	v_dual_add_f32 v47, v19, v21 :: v_dual_add_f32 v52, v58, v62
	v_sub_f32_e32 v43, v43, v49
	v_fma_f32 v41, -0.5, v41, v16
	v_dual_sub_f32 v20, v20, v53 :: v_dual_sub_f32 v49, v19, v18
	s_delay_alu instid0(VALU_DEP_4) | instskip(SKIP_4) | instid1(VALU_DEP_3)
	v_fmac_f32_e32 v15, 0x3e9e377a, v52
	v_fmac_f32_e32 v56, 0x3e9e377a, v52
	v_sub_f32_e32 v52, v21, v17
	v_sub_f32_e32 v58, v17, v21
	v_fmac_f32_e32 v44, 0x3e9e377a, v48
	v_add_f32_e32 v49, v49, v52
	v_fmac_f32_e32 v42, 0x3e9e377a, v48
	v_add_f32_e32 v48, v16, v19
	v_dual_fmac_f32 v16, -0.5, v47 :: v_dual_fmamk_f32 v47, v20, 0x3f737871, v41
	v_sub_f32_e32 v19, v18, v19
	s_delay_alu instid0(VALU_DEP_2) | instskip(NEXT) | instid1(VALU_DEP_3)
	v_fmamk_f32 v53, v43, 0xbf737871, v16
	v_dual_fmac_f32 v47, 0x3f167918, v43 :: v_dual_add_f32 v18, v48, v18
	v_fmac_f32_e32 v16, 0x3f737871, v43
	s_delay_alu instid0(VALU_DEP_3) | instskip(NEXT) | instid1(VALU_DEP_3)
	v_fmac_f32_e32 v53, 0x3f167918, v20
	v_fmac_f32_e32 v47, 0x3e9e377a, v49
	s_delay_alu instid0(VALU_DEP_4) | instskip(NEXT) | instid1(VALU_DEP_2)
	v_add_f32_e32 v17, v18, v17
	v_dual_add_f32 v19, v19, v58 :: v_dual_mul_f32 v18, 0xbf167918, v47
	s_delay_alu instid0(VALU_DEP_2) | instskip(NEXT) | instid1(VALU_DEP_2)
	v_add_f32_e32 v17, v17, v21
	v_fmac_f32_e32 v53, 0x3e9e377a, v19
	s_delay_alu instid0(VALU_DEP_3) | instskip(NEXT) | instid1(VALU_DEP_1)
	v_fmac_f32_e32 v18, 0x3f4f1bbd, v44
	v_dual_fmac_f32 v41, 0xbf737871, v20 :: v_dual_add_f32 v48, v55, v18
	s_delay_alu instid0(VALU_DEP_1) | instskip(NEXT) | instid1(VALU_DEP_1)
	v_dual_fmac_f32 v16, 0xbf167918, v20 :: v_dual_fmac_f32 v41, 0xbf167918, v43
	v_dual_add_f32 v43, v7, v24 :: v_dual_fmac_f32 v16, 0x3e9e377a, v19
	s_delay_alu instid0(VALU_DEP_2) | instskip(SKIP_2) | instid1(VALU_DEP_4)
	v_fmac_f32_e32 v41, 0x3e9e377a, v49
	v_mul_f32_e32 v19, 0xbf737871, v53
	v_mul_f32_e32 v53, 0x3e9e377a, v53
	;; [unrolled: 1-line block ×4, first 2 shown]
	s_delay_alu instid0(VALU_DEP_3) | instskip(NEXT) | instid1(VALU_DEP_3)
	v_fmac_f32_e32 v53, 0x3f737871, v56
	v_fmac_f32_e32 v20, 0xbe9e377a, v15
	v_mul_f32_e32 v21, 0xbf167918, v41
	v_mul_f32_e32 v41, 0xbf4f1bbd, v41
	v_fmac_f32_e32 v16, 0x3f737871, v15
	s_delay_alu instid0(VALU_DEP_4) | instskip(NEXT) | instid1(VALU_DEP_3)
	v_dual_mul_f32 v47, 0x3f4f1bbd, v47 :: v_dual_add_f32 v52, v6, v20
	v_dual_sub_f32 v6, v6, v20 :: v_dual_fmac_f32 v41, 0x3f167918, v42
	v_and_b32_e32 v11, 0xffff, v11
	s_delay_alu instid0(VALU_DEP_3) | instskip(SKIP_3) | instid1(VALU_DEP_4)
	v_fmac_f32_e32 v47, 0x3f167918, v44
	v_add_f32_e32 v77, v8, v16
	v_sub_f32_e32 v16, v8, v16
	v_dual_add_f32 v78, v60, v41 :: v_dual_fmac_f32 v21, 0xbf4f1bbd, v42
	v_dual_add_f32 v42, v51, v47 :: v_dual_fmac_f32 v19, 0x3e9e377a, v56
	v_mul_u32_u24_e32 v11, 0x190, v11
	v_mul_u32_u24_e32 v8, 0x190, v13
	s_delay_alu instid0(VALU_DEP_4)
	v_add_f32_e32 v58, v50, v21
	v_add_f32_e32 v15, v40, v17
	;; [unrolled: 1-line block ×3, first 2 shown]
	v_sub_f32_e32 v19, v57, v19
	v_add3_u32 v12, 0, v11, v12
	v_lshlrev_b32_e32 v11, 2, v14
	v_sub_f32_e32 v18, v55, v18
	v_dual_sub_f32 v20, v50, v21 :: v_dual_sub_f32 v7, v7, v24
	v_sub_f32_e32 v17, v40, v17
	s_delay_alu instid0(VALU_DEP_4)
	v_add3_u32 v14, 0, v8, v11
	v_sub_f32_e32 v40, v60, v41
	ds_store_2addr_b32 v12, v59, v61 offset1:10
	ds_store_2addr_b32 v12, v63, v65 offset0:20 offset1:30
	ds_store_2addr_b32 v12, v68, v34 offset0:40 offset1:50
	;; [unrolled: 1-line block ×4, first 2 shown]
	ds_store_2addr_b32 v14, v43, v48 offset1:10
	ds_store_2addr_b32 v14, v49, v52 offset0:20 offset1:30
	ds_store_2addr_b32 v14, v58, v7 offset0:40 offset1:50
	;; [unrolled: 1-line block ×4, first 2 shown]
	v_dual_mov_b32 v6, 0 :: v_dual_add_nc_u32 v5, 0xffffff9c, v46
	global_wb scope:SCOPE_SE
	s_wait_dscnt 0x0
	s_barrier_signal -1
	s_barrier_wait -1
	global_inv scope:SCOPE_SE
	s_wait_alu 0xf1ff
	v_cndmask_b32_e64 v11, v5, v46, s0
	ds_load_2addr_b32 v[7:8], v0 offset1:200
	ds_load_2addr_b32 v[55:56], v9 offset0:16 offset1:216
	ds_load_2addr_b32 v[57:58], v32 offset0:32 offset1:232
	;; [unrolled: 1-line block ×3, first 2 shown]
	ds_load_2addr_b32 v[61:62], v29 offset1:200
	ds_load_2addr_b32 v[63:64], v28 offset0:16 offset1:216
	ds_load_2addr_b32 v[65:66], v30 offset0:32 offset1:232
	;; [unrolled: 1-line block ×3, first 2 shown]
	ds_load_2addr_b32 v[69:70], v26 offset1:200
	ds_load_2addr_b32 v[71:72], v27 offset0:16 offset1:216
	global_wb scope:SCOPE_SE
	s_wait_dscnt 0x0
	s_barrier_signal -1
	v_mul_i32_i24_e32 v5, 9, v11
	s_barrier_wait -1
	global_inv scope:SCOPE_SE
	ds_store_2addr_b32 v12, v38, v39 offset1:10
	ds_store_2addr_b32 v12, v45, v73 offset0:20 offset1:30
	ds_store_2addr_b32 v12, v74, v22 offset0:40 offset1:50
	;; [unrolled: 1-line block ×4, first 2 shown]
	ds_store_2addr_b32 v14, v15, v42 offset1:10
	v_lshlrev_b64_e32 v[12:13], 3, v[5:6]
	v_lshrrev_b16 v5, 2, v10
	v_add_f32_e32 v44, v54, v53
	v_dual_sub_f32 v24, v54, v53 :: v_dual_lshlrev_b32 v11, 2, v11
	s_delay_alu instid0(VALU_DEP_3) | instskip(SKIP_3) | instid1(VALU_DEP_3)
	v_and_b32_e32 v5, 0xffff, v5
	v_add_co_u32 v37, s0, s8, v12
	s_wait_alu 0xf1ff
	v_add_co_ci_u32_e64 v38, s0, s9, v13, s0
	v_mul_u32_u24_e32 v5, 0x147b, v5
	v_cmp_lt_u32_e64 s0, 0x63, v46
	s_delay_alu instid0(VALU_DEP_2) | instskip(NEXT) | instid1(VALU_DEP_1)
	v_lshrrev_b32_e32 v5, 17, v5
	v_mul_lo_u16 v12, 0x64, v5
	v_mul_u32_u24_e32 v5, 0xfa0, v5
	s_delay_alu instid0(VALU_DEP_2) | instskip(NEXT) | instid1(VALU_DEP_1)
	v_sub_nc_u16 v10, v10, v12
	v_dual_sub_f32 v21, v51, v47 :: v_dual_and_b32 v12, 0xffff, v10
	ds_store_2addr_b32 v14, v44, v77 offset0:20 offset1:30
	ds_store_2addr_b32 v14, v78, v17 offset0:40 offset1:50
	;; [unrolled: 1-line block ×4, first 2 shown]
	global_wb scope:SCOPE_SE
	s_wait_dscnt 0x0
	s_barrier_signal -1
	s_barrier_wait -1
	global_inv scope:SCOPE_SE
	s_clause 0x3
	global_load_b128 v[13:16], v[37:38], off offset:720
	global_load_b128 v[17:20], v[37:38], off offset:736
	;; [unrolled: 1-line block ×4, first 2 shown]
	v_mul_u32_u24_e32 v10, 9, v12
	s_delay_alu instid0(VALU_DEP_1)
	v_lshlrev_b32_e32 v10, 3, v10
	s_clause 0x5
	global_load_b64 v[73:74], v[37:38], off offset:784
	global_load_b128 v[37:40], v10, s[8:9] offset:720
	global_load_b128 v[41:44], v10, s[8:9] offset:736
	;; [unrolled: 1-line block ×4, first 2 shown]
	global_load_b64 v[75:76], v10, s[8:9] offset:784
	ds_load_2addr_b32 v[9:10], v9 offset0:16 offset1:216
	ds_load_2addr_b32 v[77:78], v32 offset0:32 offset1:232
	;; [unrolled: 1-line block ×3, first 2 shown]
	ds_load_2addr_b32 v[81:82], v29 offset1:200
	ds_load_2addr_b32 v[83:84], v28 offset0:16 offset1:216
	ds_load_2addr_b32 v[85:86], v30 offset0:32 offset1:232
	;; [unrolled: 1-line block ×3, first 2 shown]
	ds_load_2addr_b32 v[89:90], v26 offset1:200
	s_wait_loadcnt_dscnt 0x906
	v_mul_f32_e32 v91, v77, v16
	v_mul_f32_e32 v45, v9, v14
	;; [unrolled: 1-line block ×4, first 2 shown]
	s_wait_loadcnt_dscnt 0x804
	v_mul_f32_e32 v92, v81, v20
	v_fmac_f32_e32 v91, v57, v15
	v_fmac_f32_e32 v45, v55, v13
	v_fma_f32 v55, v9, v13, -v14
	v_fma_f32 v57, v77, v15, -v16
	v_dual_fmac_f32 v92, v61, v19 :: v_dual_mul_f32 v77, v79, v18
	v_mul_f32_e32 v9, v59, v18
	v_mul_f32_e32 v13, v61, v20
	s_wait_loadcnt_dscnt 0x303
	v_dual_mul_f32 v61, v83, v22 :: v_dual_mul_f32 v16, v62, v44
	v_mul_f32_e32 v15, v58, v40
	v_fma_f32 v20, v79, v17, -v9
	s_wait_dscnt 0x2
	v_dual_mul_f32 v9, v63, v22 :: v_dual_mul_f32 v22, v85, v24
	v_fmac_f32_e32 v77, v59, v17
	v_fma_f32 v59, v81, v19, -v13
	ds_load_2addr_b32 v[18:19], v27 offset0:16 offset1:216
	v_mul_f32_e32 v13, v65, v24
	v_fmac_f32_e32 v61, v63, v21
	v_fma_f32 v21, v83, v21, -v9
	s_wait_dscnt 0x2
	v_mul_f32_e32 v24, v87, v34
	v_dual_mul_f32 v9, v67, v34 :: v_dual_fmac_f32 v22, v65, v23
	v_fma_f32 v23, v85, v23, -v13
	s_wait_dscnt 0x1
	v_mul_f32_e32 v34, v89, v36
	v_dual_mul_f32 v13, v69, v36 :: v_dual_fmac_f32 v24, v67, v33
	v_fma_f32 v33, v87, v33, -v9
	s_delay_alu instid0(VALU_DEP_3) | instskip(SKIP_2) | instid1(VALU_DEP_2)
	v_dual_mul_f32 v9, v71, v74 :: v_dual_fmac_f32 v34, v69, v35
	s_wait_dscnt 0x0
	v_dual_add_f32 v65, v59, v23 :: v_dual_mul_f32 v36, v18, v74
	v_fma_f32 v63, v18, v73, -v9
	v_mul_f32_e32 v9, v56, v38
	v_mul_f32_e32 v18, v80, v42
	v_fma_f32 v35, v89, v35, -v13
	v_mul_f32_e32 v13, v10, v38
	v_mul_f32_e32 v38, v78, v40
	s_wait_loadcnt 0x2
	v_mul_f32_e32 v40, v84, v48
	v_fmac_f32_e32 v18, v60, v41
	v_fma_f32 v14, v10, v37, -v9
	v_dual_fmac_f32 v13, v56, v37 :: v_dual_fmac_f32 v38, v58, v39
	s_delay_alu instid0(VALU_DEP_4)
	v_fmac_f32_e32 v40, v64, v47
	v_fma_f32 v37, v78, v39, -v15
	v_mul_f32_e32 v15, v60, v42
	v_mul_f32_e32 v39, v82, v44
	s_wait_loadcnt 0x1
	v_mul_f32_e32 v44, v88, v52
	ds_load_2addr_b32 v[9:10], v0 offset1:200
	v_mul_f32_e32 v42, v86, v50
	v_fma_f32 v17, v80, v41, -v15
	v_mul_f32_e32 v15, v64, v48
	v_mul_f32_e32 v48, v68, v52
	v_fmac_f32_e32 v44, v68, v51
	v_fmac_f32_e32 v39, v62, v43
	v_fma_f32 v41, v82, v43, -v16
	v_dual_mul_f32 v43, v66, v50 :: v_dual_sub_f32 v52, v57, v35
	v_fma_f32 v16, v84, v47, -v15
	v_fma_f32 v15, v88, v51, -v48
	v_mul_f32_e32 v48, v90, v54
	v_dual_add_f32 v47, v92, v22 :: v_dual_fmac_f32 v42, v66, v49
	v_fma_f32 v43, v86, v49, -v43
	v_mul_f32_e32 v49, v70, v54
	s_delay_alu instid0(VALU_DEP_4)
	v_fmac_f32_e32 v48, v70, v53
	s_wait_loadcnt 0x0
	v_mul_f32_e32 v50, v19, v76
	v_dual_add_f32 v51, v7, v91 :: v_dual_sub_f32 v58, v34, v22
	v_fma_f32 v47, -0.5, v47, v7
	v_fma_f32 v49, v90, v53, -v49
	s_delay_alu instid0(VALU_DEP_3) | instskip(NEXT) | instid1(VALU_DEP_3)
	v_dual_fmac_f32 v50, v72, v75 :: v_dual_add_f32 v51, v51, v92
	v_dual_sub_f32 v54, v59, v23 :: v_dual_fmamk_f32 v53, v52, 0xbf737871, v47
	v_sub_f32_e32 v56, v91, v92
	v_dual_add_f32 v60, v91, v34 :: v_dual_fmac_f32 v47, 0x3f737871, v52
	s_delay_alu instid0(VALU_DEP_4) | instskip(NEXT) | instid1(VALU_DEP_4)
	v_dual_mul_f32 v62, v72, v76 :: v_dual_add_f32 v51, v51, v22
	v_fmac_f32_e32 v53, 0xbf167918, v54
	s_delay_alu instid0(VALU_DEP_4) | instskip(NEXT) | instid1(VALU_DEP_4)
	v_add_f32_e32 v56, v56, v58
	v_fma_f32 v7, -0.5, v60, v7
	s_delay_alu instid0(VALU_DEP_4) | instskip(SKIP_1) | instid1(VALU_DEP_4)
	v_fma_f32 v19, v19, v75, -v62
	v_dual_add_f32 v51, v51, v34 :: v_dual_sub_f32 v60, v92, v91
	v_fmac_f32_e32 v53, 0x3e9e377a, v56
	s_delay_alu instid0(VALU_DEP_4)
	v_fmamk_f32 v58, v54, 0x3f737871, v7
	s_wait_dscnt 0x0
	v_dual_fmac_f32 v47, 0x3f167918, v54 :: v_dual_add_f32 v64, v9, v57
	v_sub_f32_e32 v62, v22, v34
	v_fmac_f32_e32 v7, 0xbf737871, v54
	v_fmac_f32_e32 v58, 0xbf167918, v52
	s_delay_alu instid0(VALU_DEP_4) | instskip(NEXT) | instid1(VALU_DEP_3)
	v_dual_fmac_f32 v47, 0x3e9e377a, v56 :: v_dual_add_f32 v54, v64, v59
	v_dual_add_f32 v60, v60, v62 :: v_dual_fmac_f32 v7, 0x3f167918, v52
	v_fma_f32 v62, -0.5, v65, v9
	v_sub_f32_e32 v34, v91, v34
	s_delay_alu instid0(VALU_DEP_4) | instskip(SKIP_2) | instid1(VALU_DEP_4)
	v_add_f32_e32 v52, v54, v23
	v_sub_f32_e32 v65, v35, v23
	v_fmac_f32_e32 v7, 0x3e9e377a, v60
	v_dual_sub_f32 v23, v23, v35 :: v_dual_fmamk_f32 v54, v34, 0x3f737871, v62
	v_sub_f32_e32 v22, v92, v22
	v_add_f32_e32 v56, v57, v35
	v_fmac_f32_e32 v58, 0x3e9e377a, v60
	v_dual_sub_f32 v64, v57, v59 :: v_dual_sub_f32 v57, v59, v57
	v_fmac_f32_e32 v36, v71, v73
	s_delay_alu instid0(VALU_DEP_4) | instskip(SKIP_1) | instid1(VALU_DEP_4)
	v_fma_f32 v9, -0.5, v56, v9
	v_add_f32_e32 v52, v52, v35
	v_dual_fmac_f32 v62, 0xbf737871, v34 :: v_dual_add_f32 v23, v57, v23
	s_delay_alu instid0(VALU_DEP_3) | instskip(SKIP_3) | instid1(VALU_DEP_4)
	v_dual_add_f32 v35, v45, v77 :: v_dual_fmamk_f32 v60, v22, 0xbf737871, v9
	v_fmac_f32_e32 v9, 0x3f737871, v22
	v_dual_fmac_f32 v54, 0x3f167918, v22 :: v_dual_sub_f32 v59, v36, v24
	v_sub_f32_e32 v66, v24, v36
	v_fmac_f32_e32 v60, 0x3f167918, v34
	s_delay_alu instid0(VALU_DEP_4) | instskip(SKIP_1) | instid1(VALU_DEP_3)
	v_dual_fmac_f32 v9, 0xbf167918, v34 :: v_dual_add_f32 v56, v64, v65
	v_sub_f32_e32 v57, v77, v61
	v_dual_sub_f32 v65, v61, v77 :: v_dual_fmac_f32 v60, 0x3e9e377a, v23
	s_delay_alu instid0(VALU_DEP_3) | instskip(SKIP_3) | instid1(VALU_DEP_3)
	v_fmac_f32_e32 v9, 0x3e9e377a, v23
	v_dual_sub_f32 v23, v21, v33 :: v_dual_fmac_f32 v62, 0xbf167918, v22
	v_dual_add_f32 v22, v35, v61 :: v_dual_add_f32 v35, v61, v24
	v_add_f32_e32 v57, v57, v59
	v_dual_add_f32 v59, v65, v66 :: v_dual_fmac_f32 v62, 0x3e9e377a, v56
	global_wb scope:SCOPE_SE
	v_fma_f32 v34, -0.5, v35, v45
	v_add_f32_e32 v35, v77, v36
	v_fmac_f32_e32 v54, 0x3e9e377a, v56
	v_sub_f32_e32 v56, v20, v63
	s_barrier_signal -1
	s_barrier_wait -1
	v_fmac_f32_e32 v45, -0.5, v35
	global_inv scope:SCOPE_SE
	v_fmamk_f32 v35, v56, 0xbf737871, v34
	v_fmamk_f32 v64, v23, 0x3f737871, v45
	v_fmac_f32_e32 v45, 0xbf737871, v23
	s_delay_alu instid0(VALU_DEP_3) | instskip(SKIP_1) | instid1(VALU_DEP_2)
	v_dual_fmac_f32 v35, 0xbf167918, v23 :: v_dual_add_f32 v22, v22, v24
	v_dual_sub_f32 v24, v61, v24 :: v_dual_sub_f32 v61, v63, v33
	v_dual_fmac_f32 v35, 0x3e9e377a, v57 :: v_dual_add_f32 v22, v22, v36
	v_fmac_f32_e32 v34, 0x3f737871, v56
	v_fmac_f32_e32 v64, 0xbf167918, v56
	v_dual_fmac_f32 v45, 0x3f167918, v56 :: v_dual_add_f32 v56, v20, v63
	s_delay_alu instid0(VALU_DEP_3) | instskip(NEXT) | instid1(VALU_DEP_3)
	v_dual_fmac_f32 v34, 0x3f167918, v23 :: v_dual_add_f32 v23, v21, v33
	v_fmac_f32_e32 v64, 0x3e9e377a, v59
	s_delay_alu instid0(VALU_DEP_3) | instskip(SKIP_1) | instid1(VALU_DEP_4)
	v_fmac_f32_e32 v45, 0x3e9e377a, v59
	v_sub_f32_e32 v59, v20, v21
	v_dual_fmac_f32 v34, 0x3e9e377a, v57 :: v_dual_add_f32 v57, v55, v20
	v_fma_f32 v23, -0.5, v23, v55
	v_fmac_f32_e32 v55, -0.5, v56
	s_delay_alu instid0(VALU_DEP_4) | instskip(SKIP_2) | instid1(VALU_DEP_4)
	v_dual_add_f32 v59, v59, v61 :: v_dual_sub_f32 v36, v77, v36
	v_sub_f32_e32 v20, v21, v20
	v_add_f32_e32 v21, v57, v21
	v_dual_fmamk_f32 v65, v24, 0xbf737871, v55 :: v_dual_sub_f32 v66, v33, v63
	s_delay_alu instid0(VALU_DEP_4) | instskip(SKIP_2) | instid1(VALU_DEP_4)
	v_fmamk_f32 v56, v36, 0x3f737871, v23
	v_fmac_f32_e32 v55, 0x3f737871, v24
	v_fmac_f32_e32 v23, 0xbf737871, v36
	v_dual_fmac_f32 v65, 0x3f167918, v36 :: v_dual_add_f32 v20, v20, v66
	s_delay_alu instid0(VALU_DEP_4) | instskip(NEXT) | instid1(VALU_DEP_4)
	v_dual_fmac_f32 v56, 0x3f167918, v24 :: v_dual_add_f32 v57, v51, v22
	v_dual_fmac_f32 v55, 0xbf167918, v36 :: v_dual_sub_f32 v22, v51, v22
	s_delay_alu instid0(VALU_DEP_2) | instskip(NEXT) | instid1(VALU_DEP_2)
	v_dual_fmac_f32 v65, 0x3e9e377a, v20 :: v_dual_fmac_f32 v56, 0x3e9e377a, v59
	v_dual_fmac_f32 v55, 0x3e9e377a, v20 :: v_dual_add_f32 v20, v21, v33
	s_delay_alu instid0(VALU_DEP_1) | instskip(NEXT) | instid1(VALU_DEP_2)
	v_add_f32_e32 v20, v20, v63
	v_mul_f32_e32 v33, 0xbf737871, v55
	v_mul_f32_e32 v55, 0xbe9e377a, v55
	s_delay_alu instid0(VALU_DEP_2) | instskip(NEXT) | instid1(VALU_DEP_2)
	v_fmac_f32_e32 v33, 0xbe9e377a, v45
	v_fmac_f32_e32 v55, 0x3f737871, v45
	;; [unrolled: 1-line block ×3, first 2 shown]
	v_dual_mul_f32 v24, 0xbf737871, v65 :: v_dual_add_f32 v45, v52, v20
	s_delay_alu instid0(VALU_DEP_3) | instskip(NEXT) | instid1(VALU_DEP_2)
	v_dual_mul_f32 v65, 0x3e9e377a, v65 :: v_dual_add_f32 v68, v9, v55
	v_dual_fmac_f32 v23, 0x3e9e377a, v59 :: v_dual_fmac_f32 v24, 0x3e9e377a, v64
	v_mul_f32_e32 v21, 0xbf167918, v56
	v_mul_f32_e32 v56, 0x3f4f1bbd, v56
	s_delay_alu instid0(VALU_DEP_4) | instskip(NEXT) | instid1(VALU_DEP_4)
	v_fmac_f32_e32 v65, 0x3f737871, v64
	v_mul_f32_e32 v36, 0xbf167918, v23
	v_mul_f32_e32 v23, 0xbf4f1bbd, v23
	v_fmac_f32_e32 v21, 0x3f4f1bbd, v35
	v_dual_add_f32 v61, v58, v24 :: v_dual_fmac_f32 v56, 0x3f167918, v35
	s_delay_alu instid0(VALU_DEP_4) | instskip(NEXT) | instid1(VALU_DEP_3)
	v_fmac_f32_e32 v36, 0xbf4f1bbd, v34
	v_dual_sub_f32 v24, v58, v24 :: v_dual_add_f32 v59, v53, v21
	v_dual_sub_f32 v21, v53, v21 :: v_dual_add_f32 v58, v38, v48
	s_delay_alu instid0(VALU_DEP_3)
	v_add_f32_e32 v66, v47, v36
	v_dual_add_f32 v63, v7, v33 :: v_dual_add_f32 v64, v54, v56
	v_sub_f32_e32 v7, v7, v33
	v_dual_sub_f32 v33, v47, v36 :: v_dual_sub_f32 v36, v37, v49
	v_fmac_f32_e32 v23, 0x3f167918, v34
	v_dual_add_f32 v34, v39, v42 :: v_dual_sub_f32 v47, v52, v20
	v_sub_f32_e32 v52, v60, v65
	v_add_f32_e32 v35, v8, v38
	v_add_f32_e32 v67, v60, v65
	s_delay_alu instid0(VALU_DEP_4)
	v_fma_f32 v34, -0.5, v34, v8
	v_add_f32_e32 v69, v62, v23
	v_sub_f32_e32 v53, v41, v43
	v_add_f32_e32 v20, v35, v39
	v_dual_sub_f32 v55, v9, v55 :: v_dual_add_f32 v60, v10, v37
	v_fmamk_f32 v35, v36, 0xbf737871, v34
	v_fmac_f32_e32 v8, -0.5, v58
	s_delay_alu instid0(VALU_DEP_4) | instskip(SKIP_4) | instid1(VALU_DEP_4)
	v_dual_sub_f32 v58, v42, v48 :: v_dual_add_f32 v9, v20, v42
	v_fmac_f32_e32 v34, 0x3f737871, v36
	v_sub_f32_e32 v51, v54, v56
	v_sub_f32_e32 v54, v38, v39
	;; [unrolled: 1-line block ×3, first 2 shown]
	v_fmac_f32_e32 v34, 0x3f167918, v53
	s_delay_alu instid0(VALU_DEP_2)
	v_add_f32_e32 v20, v54, v56
	v_dual_sub_f32 v54, v62, v23 :: v_dual_fmamk_f32 v23, v53, 0x3f737871, v8
	v_sub_f32_e32 v56, v39, v38
	v_dual_sub_f32 v38, v38, v48 :: v_dual_fmac_f32 v35, 0xbf167918, v53
	v_add_f32_e32 v62, v41, v43
	v_dual_add_f32 v9, v9, v48 :: v_dual_fmac_f32 v8, 0xbf737871, v53
	v_dual_add_f32 v53, v60, v41 :: v_dual_fmac_f32 v34, 0x3e9e377a, v20
	v_dual_fmac_f32 v23, 0xbf167918, v36 :: v_dual_add_f32 v48, v37, v49
	v_dual_add_f32 v56, v56, v58 :: v_dual_fmac_f32 v35, 0x3e9e377a, v20
	s_delay_alu instid0(VALU_DEP_3) | instskip(SKIP_2) | instid1(VALU_DEP_4)
	v_add_f32_e32 v20, v53, v43
	v_fma_f32 v58, -0.5, v62, v10
	v_dual_fmac_f32 v8, 0x3f167918, v36 :: v_dual_sub_f32 v39, v39, v42
	v_dual_fmac_f32 v23, 0x3e9e377a, v56 :: v_dual_sub_f32 v42, v37, v41
	s_delay_alu instid0(VALU_DEP_3) | instskip(NEXT) | instid1(VALU_DEP_3)
	v_dual_fmamk_f32 v36, v38, 0x3f737871, v58 :: v_dual_sub_f32 v53, v49, v43
	v_dual_fmac_f32 v8, 0x3e9e377a, v56 :: v_dual_sub_f32 v37, v41, v37
	v_dual_fmac_f32 v10, -0.5, v48 :: v_dual_sub_f32 v41, v43, v49
	v_dual_add_f32 v20, v20, v49 :: v_dual_add_f32 v43, v13, v18
	v_fmac_f32_e32 v58, 0xbf737871, v38
	s_delay_alu instid0(VALU_DEP_3) | instskip(SKIP_4) | instid1(VALU_DEP_3)
	v_dual_fmac_f32 v36, 0x3f167918, v39 :: v_dual_add_f32 v37, v37, v41
	v_add_f32_e32 v42, v42, v53
	v_fmamk_f32 v48, v39, 0xbf737871, v10
	v_dual_fmac_f32 v10, 0x3f737871, v39 :: v_dual_sub_f32 v49, v50, v44
	v_dual_add_f32 v41, v40, v44 :: v_dual_fmac_f32 v58, 0xbf167918, v39
	v_dual_add_f32 v39, v43, v40 :: v_dual_fmac_f32 v48, 0x3f167918, v38
	s_delay_alu instid0(VALU_DEP_3) | instskip(SKIP_1) | instid1(VALU_DEP_3)
	v_dual_sub_f32 v43, v18, v40 :: v_dual_fmac_f32 v10, 0xbf167918, v38
	v_sub_f32_e32 v56, v40, v18
	v_add_f32_e32 v38, v39, v44
	v_fma_f32 v39, -0.5, v41, v13
	v_add_f32_e32 v41, v18, v50
	v_fmac_f32_e32 v36, 0x3e9e377a, v42
	v_fmac_f32_e32 v10, 0x3e9e377a, v37
	v_sub_f32_e32 v60, v44, v50
	v_dual_fmac_f32 v48, 0x3e9e377a, v37 :: v_dual_add_f32 v37, v38, v50
	v_dual_fmac_f32 v58, 0x3e9e377a, v42 :: v_dual_add_f32 v43, v43, v49
	v_dual_sub_f32 v38, v16, v15 :: v_dual_fmac_f32 v13, -0.5, v41
	v_sub_f32_e32 v42, v17, v19
	v_sub_f32_e32 v40, v40, v44
	s_delay_alu instid0(VALU_DEP_3) | instskip(NEXT) | instid1(VALU_DEP_3)
	v_dual_sub_f32 v44, v17, v16 :: v_dual_fmamk_f32 v53, v38, 0x3f737871, v13
	v_fmamk_f32 v41, v42, 0xbf737871, v39
	v_fmac_f32_e32 v39, 0x3f737871, v42
	v_fmac_f32_e32 v13, 0xbf737871, v38
	s_delay_alu instid0(VALU_DEP_4) | instskip(NEXT) | instid1(VALU_DEP_4)
	v_fmac_f32_e32 v53, 0xbf167918, v42
	v_fmac_f32_e32 v41, 0xbf167918, v38
	s_delay_alu instid0(VALU_DEP_4) | instskip(NEXT) | instid1(VALU_DEP_4)
	v_dual_fmac_f32 v39, 0x3f167918, v38 :: v_dual_add_f32 v38, v16, v15
	v_dual_fmac_f32 v13, 0x3f167918, v42 :: v_dual_add_f32 v42, v17, v19
	s_delay_alu instid0(VALU_DEP_3) | instskip(NEXT) | instid1(VALU_DEP_3)
	v_fmac_f32_e32 v41, 0x3e9e377a, v43
	v_fmac_f32_e32 v39, 0x3e9e377a, v43
	v_dual_add_f32 v49, v56, v60 :: v_dual_sub_f32 v56, v15, v19
	v_fma_f32 v38, -0.5, v38, v14
	v_sub_f32_e32 v18, v18, v50
	v_add_f32_e32 v43, v14, v17
	s_delay_alu instid0(VALU_DEP_4) | instskip(SKIP_1) | instid1(VALU_DEP_4)
	v_fmac_f32_e32 v13, 0x3e9e377a, v49
	v_dual_fmac_f32 v53, 0x3e9e377a, v49 :: v_dual_fmac_f32 v14, -0.5, v42
	v_dual_sub_f32 v49, v19, v15 :: v_dual_fmamk_f32 v42, v18, 0x3f737871, v38
	s_delay_alu instid0(VALU_DEP_4) | instskip(NEXT) | instid1(VALU_DEP_3)
	v_dual_sub_f32 v17, v16, v17 :: v_dual_add_f32 v16, v43, v16
	v_fmamk_f32 v50, v40, 0xbf737871, v14
	v_fmac_f32_e32 v14, 0x3f737871, v40
	s_delay_alu instid0(VALU_DEP_3) | instskip(NEXT) | instid1(VALU_DEP_4)
	v_dual_fmac_f32 v38, 0xbf737871, v18 :: v_dual_add_f32 v17, v17, v56
	v_dual_add_f32 v15, v16, v15 :: v_dual_fmac_f32 v42, 0x3f167918, v40
	s_delay_alu instid0(VALU_DEP_4) | instskip(NEXT) | instid1(VALU_DEP_3)
	v_fmac_f32_e32 v50, 0x3f167918, v18
	v_fmac_f32_e32 v38, 0xbf167918, v40
	s_delay_alu instid0(VALU_DEP_3) | instskip(SKIP_1) | instid1(VALU_DEP_4)
	v_dual_add_f32 v40, v9, v37 :: v_dual_add_f32 v15, v15, v19
	v_fmac_f32_e32 v14, 0xbf167918, v18
	v_fmac_f32_e32 v50, 0x3e9e377a, v17
	v_add_f32_e32 v44, v44, v49
	v_sub_f32_e32 v9, v9, v37
	s_delay_alu instid0(VALU_DEP_4) | instskip(NEXT) | instid1(VALU_DEP_4)
	v_dual_sub_f32 v37, v20, v15 :: v_dual_fmac_f32 v14, 0x3e9e377a, v17
	v_mul_f32_e32 v17, 0xbf737871, v50
	s_delay_alu instid0(VALU_DEP_4) | instskip(NEXT) | instid1(VALU_DEP_3)
	v_fmac_f32_e32 v38, 0x3e9e377a, v44
	v_mul_f32_e32 v18, 0xbf737871, v14
	s_delay_alu instid0(VALU_DEP_3) | instskip(NEXT) | instid1(VALU_DEP_3)
	v_fmac_f32_e32 v17, 0x3e9e377a, v53
	v_mul_f32_e32 v19, 0xbf167918, v38
	v_mul_f32_e32 v38, 0xbf4f1bbd, v38
	s_delay_alu instid0(VALU_DEP_4) | instskip(SKIP_1) | instid1(VALU_DEP_4)
	v_fmac_f32_e32 v18, 0xbe9e377a, v13
	v_fmac_f32_e32 v42, 0x3e9e377a, v44
	v_dual_add_f32 v44, v23, v17 :: v_dual_fmac_f32 v19, 0xbf4f1bbd, v39
	s_delay_alu instid0(VALU_DEP_3) | instskip(NEXT) | instid1(VALU_DEP_3)
	v_dual_fmac_f32 v38, 0x3f167918, v39 :: v_dual_add_f32 v49, v8, v18
	v_mul_f32_e32 v16, 0xbf167918, v42
	v_dual_mul_f32 v42, 0x3f4f1bbd, v42 :: v_dual_add_f32 v39, v20, v15
	s_delay_alu instid0(VALU_DEP_2) | instskip(NEXT) | instid1(VALU_DEP_1)
	v_fmac_f32_e32 v16, 0x3f4f1bbd, v41
	v_dual_fmac_f32 v42, 0x3f167918, v41 :: v_dual_add_f32 v43, v35, v16
	s_delay_alu instid0(VALU_DEP_1) | instskip(SKIP_2) | instid1(VALU_DEP_2)
	v_add_f32_e32 v41, v36, v42
	v_mul_f32_e32 v50, 0x3e9e377a, v50
	v_sub_f32_e32 v36, v36, v42
	v_fmac_f32_e32 v50, 0x3f737871, v53
	s_delay_alu instid0(VALU_DEP_1) | instskip(SKIP_2) | instid1(VALU_DEP_2)
	v_add_f32_e32 v53, v48, v50
	v_mul_f32_e32 v14, 0xbe9e377a, v14
	v_sub_f32_e32 v42, v48, v50
	v_dual_fmac_f32 v14, 0x3f737871, v13 :: v_dual_sub_f32 v13, v35, v16
	v_lshl_add_u32 v35, v46, 2, 0
	s_delay_alu instid0(VALU_DEP_2) | instskip(SKIP_2) | instid1(VALU_DEP_1)
	v_add_f32_e32 v60, v10, v14
	v_sub_f32_e32 v48, v10, v14
	v_lshlrev_b32_e32 v10, 2, v12
	v_add3_u32 v5, 0, v5, v10
	v_sub_f32_e32 v8, v8, v18
	s_wait_alu 0xf1ff
	v_cndmask_b32_e64 v18, 0, 0xfa0, s0
	v_add_f32_e32 v62, v58, v38
	v_dual_sub_f32 v38, v58, v38 :: v_dual_add_nc_u32 v71, 0xc00, v5
	s_delay_alu instid0(VALU_DEP_3)
	v_add3_u32 v50, 0, v18, v11
	v_add_f32_e32 v56, v34, v19
	v_dual_sub_f32 v16, v23, v17 :: v_dual_sub_f32 v17, v34, v19
	ds_store_2addr_b32 v50, v57, v59 offset1:100
	v_add_nc_u32_e32 v59, 0x400, v50
	v_add_nc_u32_e32 v57, 0x200, v50
	v_add_nc_u32_e32 v65, 0x800, v50
	v_add_nc_u32_e32 v70, 0xc00, v50
	ds_store_2addr_b32 v57, v61, v63 offset0:72 offset1:172
	ds_store_2addr_b32 v59, v66, v22 offset0:144 offset1:244
	;; [unrolled: 1-line block ×4, first 2 shown]
	v_add_nc_u32_e32 v61, 0x200, v5
	v_add_nc_u32_e32 v63, 0x400, v5
	v_add_nc_u32_e32 v66, 0x800, v5
	ds_store_2addr_b32 v5, v40, v43 offset1:100
	ds_store_2addr_b32 v61, v44, v49 offset0:72 offset1:172
	ds_store_2addr_b32 v63, v56, v9 offset0:144 offset1:244
	ds_store_2addr_b32 v66, v13, v16 offset0:88 offset1:188
	ds_store_2addr_b32 v71, v8, v17 offset0:32 offset1:132
	global_wb scope:SCOPE_SE
	s_wait_dscnt 0x0
	s_barrier_signal -1
	s_barrier_wait -1
	global_inv scope:SCOPE_SE
	ds_load_2addr_b32 v[7:8], v0 offset1:200
	ds_load_2addr_b32 v[15:16], v32 offset0:32 offset1:232
	ds_load_2addr_b32 v[9:10], v28 offset0:16 offset1:216
	;; [unrolled: 1-line block ×4, first 2 shown]
	ds_load_2addr_b32 v[13:14], v26 offset1:200
	ds_load_2addr_b32 v[17:18], v30 offset0:32 offset1:232
	ds_load_b32 v33, v0 offset:1600
	ds_load_b32 v34, v35 offset:2400
	ds_load_2addr_b32 v[21:22], v29 offset1:200
	ds_load_2addr_b32 v[19:20], v27 offset0:16 offset1:216
	global_wb scope:SCOPE_SE
	s_wait_dscnt 0x0
	s_barrier_signal -1
	s_barrier_wait -1
	global_inv scope:SCOPE_SE
	ds_store_2addr_b32 v50, v45, v64 offset1:100
	ds_store_2addr_b32 v57, v67, v68 offset0:72 offset1:172
	ds_store_2addr_b32 v59, v69, v47 offset0:144 offset1:244
	;; [unrolled: 1-line block ×4, first 2 shown]
	ds_store_2addr_b32 v5, v39, v41 offset1:100
	ds_store_2addr_b32 v61, v53, v60 offset0:72 offset1:172
	ds_store_2addr_b32 v63, v62, v37 offset0:144 offset1:244
	;; [unrolled: 1-line block ×4, first 2 shown]
	global_wb scope:SCOPE_SE
	s_wait_dscnt 0x0
	s_barrier_signal -1
	s_barrier_wait -1
	global_inv scope:SCOPE_SE
	s_and_saveexec_b32 s0, vcc_lo
	s_cbranch_execz .LBB0_15
; %bb.14:
	v_mul_u32_u24_e32 v5, 3, v46
	v_dual_mov_b32 v76, v6 :: v_dual_add_nc_u32 v57, 0x320, v46
	v_dual_mov_b32 v77, v6 :: v_dual_add_nc_u32 v78, 0x190, v46
	s_delay_alu instid0(VALU_DEP_3) | instskip(NEXT) | instid1(VALU_DEP_3)
	v_dual_mov_b32 v74, v6 :: v_dual_lshlrev_b32 v5, 3, v5
	v_mul_u32_u24_e32 v40, 3, v57
	v_dual_mov_b32 v79, v6 :: v_dual_add_nc_u32 v80, 0x258, v46
	s_clause 0x1
	global_load_b128 v[36:39], v5, s[8:9] offset:7920
	global_load_b64 v[44:45], v5, s[8:9] offset:7936
	v_mad_u32_u24 v5, v57, 3, 0xfffffda8
	v_lshlrev_b32_e32 v53, 3, v40
	v_add_nc_u32_e32 v75, 0xc8, v46
	v_mul_lo_u32 v73, s2, v4
	v_mul_hi_u32 v82, 0x10624dd3, v78
	v_lshlrev_b64_e32 v[47:48], 3, v[5:6]
	global_load_b128 v[40:43], v53, s[8:9] offset:7920
	v_mad_u32_u24 v5, v57, 3, 0xfffffb50
	v_mul_hi_u32 v83, 0x10624dd3, v80
	v_lshlrev_b64_e32 v[1:2], 3, v[1:2]
	v_add_co_u32 v51, vcc_lo, s8, v47
	s_wait_alu 0xfffd
	v_add_co_ci_u32_e32 v52, vcc_lo, s9, v48, vcc_lo
	v_lshrrev_b32_e32 v82, 6, v82
	s_clause 0x2
	global_load_b128 v[47:50], v[51:52], off offset:7920
	global_load_b64 v[59:60], v53, s[8:9] offset:7936
	global_load_b64 v[61:62], v[51:52], off offset:7936
	v_lshlrev_b64_e32 v[51:52], 3, v[5:6]
	v_mad_u32_u24 v5, v57, 3, 0xfffff8f8
	v_lshrrev_b32_e32 v86, 6, v83
	s_delay_alu instid0(VALU_DEP_3) | instskip(SKIP_1) | instid1(VALU_DEP_4)
	v_add_co_u32 v55, vcc_lo, s8, v51
	s_wait_alu 0xfffd
	v_add_co_ci_u32_e32 v56, vcc_lo, s9, v52, vcc_lo
	s_clause 0x1
	global_load_b128 v[51:54], v[55:56], off offset:7920
	global_load_b64 v[63:64], v[55:56], off offset:7936
	v_lshlrev_b64_e32 v[55:56], 3, v[5:6]
	v_mul_lo_u32 v5, s3, v3
	v_mad_co_u64_u32 v[3:4], null, s2, v3, 0
	s_delay_alu instid0(VALU_DEP_3) | instskip(SKIP_1) | instid1(VALU_DEP_4)
	v_add_co_u32 v65, vcc_lo, s8, v55
	s_wait_alu 0xfffd
	v_add_co_ci_u32_e32 v66, vcc_lo, s9, v56, vcc_lo
	s_clause 0x1
	global_load_b128 v[55:58], v[65:66], off offset:7920
	global_load_b64 v[65:66], v[65:66], off offset:7936
	ds_load_2addr_b32 v[67:68], v32 offset0:32 offset1:232
	ds_load_2addr_b32 v[31:32], v31 offset0:48 offset1:248
	ds_load_2addr_b32 v[69:70], v29 offset1:200
	ds_load_2addr_b32 v[29:30], v30 offset0:32 offset1:232
	ds_load_2addr_b32 v[71:72], v28 offset0:16 offset1:216
	v_mul_hi_u32 v28, 0x10624dd3, v75
	v_add_nc_u32_e32 v81, 0x320, v46
	v_add3_u32 v4, v4, v73, v5
	v_mul_u32_u24_e32 v73, 0x3e8, v82
	s_delay_alu instid0(VALU_DEP_3) | instskip(NEXT) | instid1(VALU_DEP_3)
	v_mul_hi_u32 v84, 0x10624dd3, v81
	v_lshlrev_b64_e32 v[3:4], 3, v[3:4]
	v_lshrrev_b32_e32 v28, 6, v28
	s_delay_alu instid0(VALU_DEP_4) | instskip(NEXT) | instid1(VALU_DEP_2)
	v_sub_nc_u32_e32 v78, v78, v73
	v_mul_u32_u24_e32 v85, 0x3e8, v28
	v_lshrrev_b32_e32 v87, 6, v84
	s_delay_alu instid0(VALU_DEP_2) | instskip(SKIP_1) | instid1(VALU_DEP_3)
	v_sub_nc_u32_e32 v5, v75, v85
	v_mul_u32_u24_e32 v75, 0x3e8, v86
	v_mul_u32_u24_e32 v83, 0x3e8, v87
	s_delay_alu instid0(VALU_DEP_3)
	v_mad_u32_u24 v5, 0xfa0, v28, v5
	v_add_co_u32 v28, vcc_lo, s6, v3
	s_wait_alu 0xfffd
	v_add_co_ci_u32_e32 v84, vcc_lo, s7, v4, vcc_lo
	v_sub_nc_u32_e32 v88, v80, v75
	v_lshlrev_b64_e32 v[3:4], 3, v[5:6]
	v_add_nc_u32_e32 v73, 0x3e8, v5
	v_add_nc_u32_e32 v75, 0x7d0, v5
	;; [unrolled: 1-line block ×3, first 2 shown]
	v_sub_nc_u32_e32 v89, v81, v83
	v_add_co_u32 v90, vcc_lo, v28, v1
	s_wait_alu 0xfffd
	v_add_co_ci_u32_e32 v91, vcc_lo, v84, v2, vcc_lo
	v_lshlrev_b64_e32 v[80:81], 3, v[5:6]
	v_mad_u32_u24 v5, 0xfa0, v82, v78
	v_lshlrev_b64_e32 v[1:2], 3, v[73:74]
	v_lshlrev_b64_e32 v[73:74], 3, v[75:76]
	v_add_co_u32 v3, vcc_lo, v90, v3
	s_delay_alu instid0(VALU_DEP_4)
	v_lshlrev_b64_e32 v[82:83], 3, v[5:6]
	v_add_nc_u32_e32 v76, 0x3e8, v5
	v_add_nc_u32_e32 v78, 0x7d0, v5
	;; [unrolled: 1-line block ×3, first 2 shown]
	s_wait_alu 0xfffd
	v_add_co_ci_u32_e32 v4, vcc_lo, v91, v4, vcc_lo
	v_add_co_u32 v1, vcc_lo, v90, v1
	s_wait_alu 0xfffd
	v_add_co_ci_u32_e32 v2, vcc_lo, v91, v2, vcc_lo
	v_lshlrev_b64_e32 v[84:85], 3, v[5:6]
	v_mad_u32_u24 v5, 0xfa0, v86, v88
	v_add_co_u32 v73, vcc_lo, v90, v73
	s_wait_alu 0xfffd
	v_add_co_ci_u32_e32 v74, vcc_lo, v91, v74, vcc_lo
	v_add_co_u32 v80, vcc_lo, v90, v80
	s_wait_alu 0xfffd
	v_add_co_ci_u32_e32 v81, vcc_lo, v91, v81, vcc_lo
	s_wait_loadcnt 0x9
	v_mul_f32_e32 v86, v16, v36
	s_wait_dscnt 0x0
	v_mul_f32_e32 v88, v71, v39
	v_mul_f32_e32 v16, v16, v37
	v_dual_mul_f32 v28, v9, v39 :: v_dual_mov_b32 v39, v6
	v_fmac_f32_e32 v86, v68, v37
	s_delay_alu instid0(VALU_DEP_4) | instskip(NEXT) | instid1(VALU_DEP_4)
	v_fmac_f32_e32 v88, v9, v38
	v_fma_f32 v9, v68, v36, -v16
	s_wait_loadcnt 0x8
	v_mul_f32_e32 v16, v24, v44
	v_mul_f32_e32 v24, v24, v45
	v_add_co_u32 v36, vcc_lo, v90, v82
	s_wait_alu 0xfffd
	v_add_co_ci_u32_e32 v37, vcc_lo, v91, v83, vcc_lo
	s_wait_loadcnt 0x7
	v_mul_f32_e32 v83, v22, v40
	v_lshlrev_b64_e32 v[75:76], 3, v[76:77]
	v_fma_f32 v82, v32, v44, -v24
	v_mul_f32_e32 v24, v22, v41
	v_mul_f32_e32 v68, v31, v43
	v_fmac_f32_e32 v16, v32, v45
	v_add_nc_u32_e32 v22, 0x3e8, v5
	v_fmac_f32_e32 v83, v70, v41
	v_fma_f32 v93, v70, v40, -v24
	v_add_co_u32 v40, vcc_lo, v90, v75
	s_wait_loadcnt 0x6
	v_mul_f32_e32 v75, v21, v47
	v_lshlrev_b64_e32 v[77:78], 3, v[78:79]
	v_fma_f32 v79, v71, v38, -v28
	v_mul_f32_e32 v28, v23, v43
	v_mul_hi_u32 v24, 0x10624dd3, v46
	v_dual_mul_f32 v21, v21, v48 :: v_dual_fmac_f32 v68, v23, v42
	v_add_nc_u32_e32 v38, 0x7d0, v5
	s_delay_alu instid0(VALU_DEP_4)
	v_fma_f32 v92, v31, v42, -v28
	ds_load_2addr_b32 v[27:28], v27 offset0:16 offset1:216
	v_lshlrev_b64_e32 v[31:32], 3, v[5:6]
	v_add_nc_u32_e32 v5, 0xbb8, v5
	s_wait_alu 0xfffd
	v_add_co_ci_u32_e32 v41, vcc_lo, v91, v76, vcc_lo
	v_dual_mul_f32 v76, v30, v50 :: v_dual_fmac_f32 v75, v69, v48
	v_fma_f32 v69, v69, v47, -v21
	v_mul_f32_e32 v21, v18, v50
	v_lshrrev_b32_e32 v47, 6, v24
	v_add_co_u32 v42, vcc_lo, v90, v77
	s_wait_alu 0xfffd
	v_add_co_ci_u32_e32 v43, vcc_lo, v91, v78, vcc_lo
	v_add_co_u32 v44, vcc_lo, v90, v84
	v_lshlrev_b64_e32 v[70:71], 3, v[5:6]
	v_mad_u32_u24 v5, 0xfa0, v87, v89
	v_mov_b32_e32 v23, v6
	v_fma_f32 v77, v30, v49, -v21
	v_fmac_f32_e32 v76, v18, v49
	s_wait_loadcnt 0x5
	v_mul_f32_e32 v18, v20, v60
	v_mul_u32_u24_e32 v30, 0x3e8, v47
	s_wait_alu 0xfffd
	v_add_co_ci_u32_e32 v45, vcc_lo, v91, v85, vcc_lo
	v_mul_f32_e32 v50, v20, v59
	v_add_co_u32 v20, vcc_lo, v90, v31
	s_wait_alu 0xfffd
	v_add_co_ci_u32_e32 v21, vcc_lo, v91, v32, vcc_lo
	s_wait_dscnt 0x0
	v_fma_f32 v32, v28, v59, -v18
	v_sub_nc_u32_e32 v59, v46, v30
	v_lshlrev_b64_e32 v[30:31], 3, v[22:23]
	s_wait_loadcnt 0x4
	v_dual_mul_f32 v18, v19, v62 :: v_dual_add_nc_u32 v23, 0x3e8, v5
	ds_load_2addr_b32 v[48:49], v0 offset1:200
	s_wait_loadcnt 0x3
	v_dual_mul_f32 v78, v19, v61 :: v_dual_mul_f32 v85, v12, v51
	v_mov_b32_e32 v19, v6
	v_lshlrev_b64_e32 v[38:39], 3, v[38:39]
	v_add_co_u32 v30, vcc_lo, v90, v30
	v_mov_b32_e32 v24, v6
	v_fma_f32 v84, v27, v61, -v18
	v_mul_f32_e32 v61, v17, v54
	s_wait_alu 0xfffd
	v_add_co_ci_u32_e32 v31, vcc_lo, v91, v31, vcc_lo
	v_add_co_u32 v38, vcc_lo, v90, v38
	s_wait_alu 0xfffd
	v_add_co_ci_u32_e32 v39, vcc_lo, v91, v39, vcc_lo
	v_add_co_u32 v46, vcc_lo, v90, v70
	v_fma_f32 v70, v29, v53, -v61
	v_mul_f32_e32 v29, v29, v54
	v_lshlrev_b64_e32 v[22:23], 3, v[23:24]
	ds_load_2addr_b32 v[24:25], v25 offset0:48 offset1:248
	v_fmac_f32_e32 v50, v28, v60
	s_wait_dscnt 0x1
	v_dual_sub_f32 v54, v48, v79 :: v_dual_sub_f32 v79, v9, v82
	ds_load_b32 v35, v35 offset:2400
	ds_load_b32 v0, v0 offset:1600
	v_fmac_f32_e32 v78, v27, v62
	v_add_nc_u32_e32 v18, 0x7d0, v5
	s_wait_alu 0xfffd
	v_add_co_ci_u32_e32 v47, vcc_lo, v91, v71, vcc_lo
	v_sub_f32_e32 v71, v7, v88
	ds_load_2addr_b32 v[61:62], v26 offset1:200
	v_dual_fmac_f32 v29, v17, v53 :: v_dual_mul_f32 v12, v12, v52
	v_sub_f32_e32 v53, v15, v68
	v_fma_f32 v48, v48, 2.0, -v54
	v_fma_f32 v9, v9, 2.0, -v79
	v_lshlrev_b64_e32 v[27:28], 3, v[5:6]
	v_sub_f32_e32 v26, v86, v16
	v_add_f32_e32 v16, v71, v79
	s_wait_loadcnt 0x2
	v_mul_f32_e32 v79, v14, v63
	s_wait_dscnt 0x3
	v_fmac_f32_e32 v85, v25, v52
	v_sub_f32_e32 v32, v93, v32
	v_fma_f32 v87, v25, v51, -v12
	v_sub_f32_e32 v51, v48, v9
	v_sub_f32_e32 v9, v75, v78
	v_dual_sub_f32 v82, v67, v92 :: v_dual_sub_f32 v17, v54, v26
	v_dual_sub_f32 v50, v83, v50 :: v_dual_add_nc_u32 v5, 0xbb8, v5
	v_add_f32_e32 v25, v53, v32
	v_fma_f32 v7, v7, 2.0, -v71
	v_fma_f32 v12, v86, 2.0, -v26
	;; [unrolled: 1-line block ×4, first 2 shown]
	v_lshlrev_b64_e32 v[18:19], 3, v[18:19]
	v_add_co_u32 v27, vcc_lo, v90, v27
	s_wait_alu 0xfffd
	v_add_co_ci_u32_e32 v28, vcc_lo, v91, v28, vcc_lo
	v_lshlrev_b64_e32 v[5:6], 3, v[5:6]
	v_add_co_u32 v22, vcc_lo, v90, v22
	v_mul_f32_e32 v52, v14, v64
	v_fma_f32 v32, v15, 2.0, -v53
	v_fma_f32 v68, v83, 2.0, -v50
	s_wait_loadcnt 0x0
	v_mul_f32_e32 v83, v13, v65
	v_fma_f32 v15, v54, 2.0, -v17
	v_fma_f32 v14, v71, 2.0, -v16
	s_wait_dscnt 0x0
	v_dual_sub_f32 v54, v35, v77 :: v_dual_fmac_f32 v79, v62, v64
	v_sub_f32_e32 v71, v34, v76
	v_dual_sub_f32 v76, v69, v84 :: v_dual_mul_f32 v77, v10, v58
	v_dual_mul_f32 v78, v11, v55 :: v_dual_mul_f32 v13, v13, v66
	v_dual_mul_f32 v58, v72, v58 :: v_dual_sub_f32 v29, v33, v29
	v_mul_f32_e32 v84, v11, v56
	v_fma_f32 v11, v53, 2.0, -v25
	v_sub_f32_e32 v53, v86, v67
	v_dual_sub_f32 v26, v82, v50 :: v_dual_add_f32 v67, v71, v76
	v_sub_f32_e32 v50, v7, v12
	s_wait_alu 0xfffd
	v_add_co_ci_u32_e32 v23, vcc_lo, v91, v23, vcc_lo
	v_add_co_u32 v18, vcc_lo, v90, v18
	v_lshlrev_b32_e32 v59, 3, v59
	s_wait_alu 0xfffd
	v_add_co_ci_u32_e32 v19, vcc_lo, v91, v19, vcc_lo
	v_add_co_u32 v5, vcc_lo, v90, v5
	v_fma_f32 v64, v62, v63, -v52
	v_fma_f32 v72, v72, v57, -v77
	v_fmac_f32_e32 v58, v10, v57
	s_wait_alu 0xfffd
	v_add_co_ci_u32_e32 v6, vcc_lo, v91, v6, vcc_lo
	v_add_co_u32 v59, vcc_lo, v90, v59
	v_sub_f32_e32 v57, v49, v72
	s_wait_alu 0xfffd
	v_add_co_ci_u32_e32 v60, vcc_lo, 0, v91, vcc_lo
	v_dual_sub_f32 v52, v32, v68 :: v_dual_fmac_f32 v83, v61, v66
	v_fma_f32 v63, v48, 2.0, -v51
	v_fma_f32 v62, v7, 2.0, -v50
	;; [unrolled: 1-line block ×6, first 2 shown]
	v_dual_sub_f32 v69, v0, v70 :: v_dual_sub_f32 v70, v85, v79
	v_fmac_f32_e32 v78, v24, v56
	v_fma_f32 v24, v24, v55, -v84
	v_fma_f32 v55, v61, v65, -v13
	v_dual_sub_f32 v61, v8, v58 :: v_dual_sub_f32 v64, v87, v64
	v_sub_f32_e32 v68, v54, v9
	s_clause 0x3
	global_store_b64 v[59:60], v[62:63], off
	global_store_b64 v[59:60], v[14:15], off offset:8000
	global_store_b64 v[59:60], v[50:51], off offset:16000
	global_store_b64 v[59:60], v[16:17], off offset:24000
	v_sub_f32_e32 v15, v48, v34
	v_fma_f32 v0, v0, 2.0, -v69
	v_dual_sub_f32 v16, v7, v35 :: v_dual_sub_f32 v35, v69, v70
	v_dual_add_f32 v34, v29, v64 :: v_dual_sub_f32 v59, v24, v55
	v_fma_f32 v60, v33, 2.0, -v29
	s_delay_alu instid0(VALU_DEP_3)
	v_fma_f32 v33, v7, 2.0, -v16
	v_fma_f32 v7, v49, 2.0, -v57
	;; [unrolled: 1-line block ×4, first 2 shown]
	v_sub_f32_e32 v50, v78, v83
	v_fma_f32 v32, v48, 2.0, -v15
	v_fma_f32 v58, v8, 2.0, -v61
	;; [unrolled: 1-line block ×3, first 2 shown]
	v_sub_f32_e32 v55, v7, v24
	v_sub_f32_e32 v51, v57, v50
	v_fma_f32 v48, v78, 2.0, -v50
	v_fma_f32 v56, v85, 2.0, -v70
	;; [unrolled: 1-line block ×3, first 2 shown]
	v_dual_add_f32 v50, v61, v59 :: v_dual_sub_f32 v49, v0, v17
	s_delay_alu instid0(VALU_DEP_4) | instskip(NEXT) | instid1(VALU_DEP_4)
	v_sub_f32_e32 v54, v58, v48
	v_sub_f32_e32 v48, v60, v56
	v_fma_f32 v59, v7, 2.0, -v55
	v_fma_f32 v57, v57, 2.0, -v51
	;; [unrolled: 1-line block ×11, first 2 shown]
	s_clause 0xf
	global_store_b64 v[3:4], v[58:59], off
	global_store_b64 v[1:2], v[56:57], off
	;; [unrolled: 1-line block ×16, first 2 shown]
.LBB0_15:
	s_nop 0
	s_sendmsg sendmsg(MSG_DEALLOC_VGPRS)
	s_endpgm
	.section	.rodata,"a",@progbits
	.p2align	6, 0x0
	.amdhsa_kernel fft_rtc_back_len4000_factors_10_10_10_4_wgs_200_tpt_200_halfLds_sp_op_CI_CI_unitstride_sbrr_dirReg
		.amdhsa_group_segment_fixed_size 0
		.amdhsa_private_segment_fixed_size 0
		.amdhsa_kernarg_size 104
		.amdhsa_user_sgpr_count 2
		.amdhsa_user_sgpr_dispatch_ptr 0
		.amdhsa_user_sgpr_queue_ptr 0
		.amdhsa_user_sgpr_kernarg_segment_ptr 1
		.amdhsa_user_sgpr_dispatch_id 0
		.amdhsa_user_sgpr_private_segment_size 0
		.amdhsa_wavefront_size32 1
		.amdhsa_uses_dynamic_stack 0
		.amdhsa_enable_private_segment 0
		.amdhsa_system_sgpr_workgroup_id_x 1
		.amdhsa_system_sgpr_workgroup_id_y 0
		.amdhsa_system_sgpr_workgroup_id_z 0
		.amdhsa_system_sgpr_workgroup_info 0
		.amdhsa_system_vgpr_workitem_id 0
		.amdhsa_next_free_vgpr 94
		.amdhsa_next_free_sgpr 39
		.amdhsa_reserve_vcc 1
		.amdhsa_float_round_mode_32 0
		.amdhsa_float_round_mode_16_64 0
		.amdhsa_float_denorm_mode_32 3
		.amdhsa_float_denorm_mode_16_64 3
		.amdhsa_fp16_overflow 0
		.amdhsa_workgroup_processor_mode 1
		.amdhsa_memory_ordered 1
		.amdhsa_forward_progress 0
		.amdhsa_round_robin_scheduling 0
		.amdhsa_exception_fp_ieee_invalid_op 0
		.amdhsa_exception_fp_denorm_src 0
		.amdhsa_exception_fp_ieee_div_zero 0
		.amdhsa_exception_fp_ieee_overflow 0
		.amdhsa_exception_fp_ieee_underflow 0
		.amdhsa_exception_fp_ieee_inexact 0
		.amdhsa_exception_int_div_zero 0
	.end_amdhsa_kernel
	.text
.Lfunc_end0:
	.size	fft_rtc_back_len4000_factors_10_10_10_4_wgs_200_tpt_200_halfLds_sp_op_CI_CI_unitstride_sbrr_dirReg, .Lfunc_end0-fft_rtc_back_len4000_factors_10_10_10_4_wgs_200_tpt_200_halfLds_sp_op_CI_CI_unitstride_sbrr_dirReg
                                        ; -- End function
	.section	.AMDGPU.csdata,"",@progbits
; Kernel info:
; codeLenInByte = 12656
; NumSgprs: 41
; NumVgprs: 94
; ScratchSize: 0
; MemoryBound: 0
; FloatMode: 240
; IeeeMode: 1
; LDSByteSize: 0 bytes/workgroup (compile time only)
; SGPRBlocks: 5
; VGPRBlocks: 11
; NumSGPRsForWavesPerEU: 41
; NumVGPRsForWavesPerEU: 94
; Occupancy: 16
; WaveLimiterHint : 1
; COMPUTE_PGM_RSRC2:SCRATCH_EN: 0
; COMPUTE_PGM_RSRC2:USER_SGPR: 2
; COMPUTE_PGM_RSRC2:TRAP_HANDLER: 0
; COMPUTE_PGM_RSRC2:TGID_X_EN: 1
; COMPUTE_PGM_RSRC2:TGID_Y_EN: 0
; COMPUTE_PGM_RSRC2:TGID_Z_EN: 0
; COMPUTE_PGM_RSRC2:TIDIG_COMP_CNT: 0
	.text
	.p2alignl 7, 3214868480
	.fill 96, 4, 3214868480
	.type	__hip_cuid_fd2d30bf6bb367cf,@object ; @__hip_cuid_fd2d30bf6bb367cf
	.section	.bss,"aw",@nobits
	.globl	__hip_cuid_fd2d30bf6bb367cf
__hip_cuid_fd2d30bf6bb367cf:
	.byte	0                               ; 0x0
	.size	__hip_cuid_fd2d30bf6bb367cf, 1

	.ident	"AMD clang version 19.0.0git (https://github.com/RadeonOpenCompute/llvm-project roc-6.4.0 25133 c7fe45cf4b819c5991fe208aaa96edf142730f1d)"
	.section	".note.GNU-stack","",@progbits
	.addrsig
	.addrsig_sym __hip_cuid_fd2d30bf6bb367cf
	.amdgpu_metadata
---
amdhsa.kernels:
  - .args:
      - .actual_access:  read_only
        .address_space:  global
        .offset:         0
        .size:           8
        .value_kind:     global_buffer
      - .offset:         8
        .size:           8
        .value_kind:     by_value
      - .actual_access:  read_only
        .address_space:  global
        .offset:         16
        .size:           8
        .value_kind:     global_buffer
      - .actual_access:  read_only
        .address_space:  global
        .offset:         24
        .size:           8
        .value_kind:     global_buffer
      - .actual_access:  read_only
        .address_space:  global
        .offset:         32
        .size:           8
        .value_kind:     global_buffer
      - .offset:         40
        .size:           8
        .value_kind:     by_value
      - .actual_access:  read_only
        .address_space:  global
        .offset:         48
        .size:           8
        .value_kind:     global_buffer
      - .actual_access:  read_only
        .address_space:  global
        .offset:         56
        .size:           8
        .value_kind:     global_buffer
      - .offset:         64
        .size:           4
        .value_kind:     by_value
      - .actual_access:  read_only
        .address_space:  global
        .offset:         72
        .size:           8
        .value_kind:     global_buffer
      - .actual_access:  read_only
        .address_space:  global
        .offset:         80
        .size:           8
        .value_kind:     global_buffer
      - .actual_access:  read_only
        .address_space:  global
        .offset:         88
        .size:           8
        .value_kind:     global_buffer
      - .actual_access:  write_only
        .address_space:  global
        .offset:         96
        .size:           8
        .value_kind:     global_buffer
    .group_segment_fixed_size: 0
    .kernarg_segment_align: 8
    .kernarg_segment_size: 104
    .language:       OpenCL C
    .language_version:
      - 2
      - 0
    .max_flat_workgroup_size: 200
    .name:           fft_rtc_back_len4000_factors_10_10_10_4_wgs_200_tpt_200_halfLds_sp_op_CI_CI_unitstride_sbrr_dirReg
    .private_segment_fixed_size: 0
    .sgpr_count:     41
    .sgpr_spill_count: 0
    .symbol:         fft_rtc_back_len4000_factors_10_10_10_4_wgs_200_tpt_200_halfLds_sp_op_CI_CI_unitstride_sbrr_dirReg.kd
    .uniform_work_group_size: 1
    .uses_dynamic_stack: false
    .vgpr_count:     94
    .vgpr_spill_count: 0
    .wavefront_size: 32
    .workgroup_processor_mode: 1
amdhsa.target:   amdgcn-amd-amdhsa--gfx1201
amdhsa.version:
  - 1
  - 2
...

	.end_amdgpu_metadata
